;; amdgpu-corpus repo=ROCm/aiter kind=harvested arch=n/a opt=n/a

/root/src/amdgpu-assembly/repos/ROCm__aiter/hsa/gfx950/f4gemm/f4gemm_bf16_per1x32Fp4_BpreShuffle_224x256.co:	file format elf64-amdgpu

Disassembly of section .text:

0000000000002c00 <_ZN5aiter42f4gemm_bf16_per1x32Fp4_BpreShuffle_224x256E>:
	s_and_b32 s1, s1, 0xffff                                   // 000000002C00: 8601FF01 0000FFFF
	s_load_dwordx2 s[4:5], s[0:1], 0x0                         // 000000002C08: C0060100 00000000
	s_load_dwordx2 s[8:9], s[0:1], 0x10                        // 000000002C10: C0060200 00000010
	s_load_dwordx2 s[12:13], s[0:1], 0x20                      // 000000002C18: C0060300 00000020
	s_load_dwordx2 s[16:17], s[0:1], 0x30                      // 000000002C20: C0060400 00000030
	s_load_dword s41, s[0:1], 0x40                             // 000000002C28: C0020A40 00000040
	s_load_dword s42, s[0:1], 0x50                             // 000000002C30: C0020A80 00000050
	s_load_dword s36, s[0:1], 0x80                             // 000000002C38: C0020900 00000080
	s_load_dword s37, s[0:1], 0xa0                             // 000000002C40: C0020940 000000A0
	s_load_dword s38, s[0:1], 0xc0                             // 000000002C48: C0020980 000000C0
	s_load_dword s43, s[0:1], 0xe0                             // 000000002C50: C0020AC0 000000E0
	s_load_dword s44, s[0:1], 0xf0                             // 000000002C58: C0020B00 000000F0
	s_load_dword s45, s[0:1], 0x100                            // 000000002C60: C0020B40 00000100
	s_load_dwordx2 s[20:21], s[0:1], 0x110                     // 000000002C68: C0060500 00000110
	s_load_dwordx2 s[24:25], s[0:1], 0x120                     // 000000002C70: C0060600 00000120
	s_load_dword s39, s[0:1], 0x130                            // 000000002C78: C00209C0 00000130
	s_load_dword s40, s[0:1], 0x150                            // 000000002C80: C0020A00 00000150
	v_lshrrev_b32_e32 v1, 10, v0                               // 000000002C88: 2002008A
	v_lshrrev_b32_e32 v2, 10, v1                               // 000000002C8C: 2004028A
	v_and_b32_e32 v2, 0x3ff, v2                                // 000000002C90: 260404FF 000003FF
	v_and_b32_e32 v1, 0x3ff, v1                                // 000000002C98: 260202FF 000003FF
	v_and_b32_e32 v0, 0x3ff, v0                                // 000000002CA0: 260000FF 000003FF
	v_lshrrev_b32_e32 v3, 6, v0                                // 000000002CA8: 20060086
	v_and_b32_e32 v0, 63, v0                                   // 000000002CAC: 260000BF
	v_readfirstlane_b32 s46, v3                                // 000000002CB0: 7E5C0503
	s_waitcnt lgkmcnt(0)                                       // 000000002CB4: BF8CC07F
	s_mul_i32 s63, 0xe0, 8                                     // 000000002CB8: 923F88FF 000000E0
	v_cvt_f32_u32_e32 v4, s63                                  // 000000002CC0: 7E080C3F
	s_sub_i32 s62, 0, s63                                      // 000000002CC4: 81BE3F80
	v_rcp_iflag_f32_e32 v4, v4                                 // 000000002CC8: 7E084704
	s_nop 0                                                    // 000000002CCC: BF800000
	v_mul_f32_e32 v4, 0x4f7ffffe, v4                           // 000000002CD0: 0A0808FF 4F7FFFFE
	v_cvt_u32_f32_e32 v4, v4                                   // 000000002CD8: 7E080F04
	v_mul_lo_u32 v5, s62, v4                                   // 000000002CDC: D2850005 0002083E
	v_mul_hi_u32 v5, v4, v5                                    // 000000002CE4: D2860005 00020B04
	v_add_u32_e32 v4, v4, v5                                   // 000000002CEC: 68080B04
	v_mul_hi_u32 v4, s43, v4                                   // 000000002CF0: D2860004 0002082B
	v_mul_lo_u32 v5, v4, s63                                   // 000000002CF8: D2850005 00007F04
	v_sub_u32_e32 v7, s43, v5                                  // 000000002D00: 6A0E0A2B
	v_add_u32_e32 v6, 1, v4                                    // 000000002D04: 680C0881
	v_cmp_le_u32_e32 vcc, s63, v7                              // 000000002D08: 7D960E3F
	v_subrev_u32_e32 v5, s63, v7                               // 000000002D0C: 6C0A0E3F
	s_nop 0                                                    // 000000002D10: BF800000
	v_cndmask_b32_e32 v4, v4, v6, vcc                          // 000000002D14: 00080D04
	v_cndmask_b32_e32 v7, v7, v5, vcc                          // 000000002D18: 000E0B07
	v_add_u32_e32 v5, 1, v4                                    // 000000002D1C: 680A0881
	v_cmp_le_u32_e32 vcc, s63, v7                              // 000000002D20: 7D960E3F
	s_nop 1                                                    // 000000002D24: BF800001
	v_cndmask_b32_e32 v7, v4, v5, vcc                          // 000000002D28: 000E0B04
	s_nop 3                                                    // 000000002D2C: BF800003
	v_readfirstlane_b32 s62, v7                                // 000000002D30: 7E7C0507
	s_nop 3                                                    // 000000002D34: BF800003
	s_lshl_b32 s62, s62, 3                                     // 000000002D38: 8E3E833E
	s_cmp_lt_i32 s3, s62                                       // 000000002D3C: BF043E03
	s_cbranch_scc0 label_0072                                  // 000000002D40: BF840021
	s_add_u32 s49, s44, 0xff                                   // 000000002D44: 8031FF2C 000000FF
	s_lshr_b32 s48, s49, 8                                     // 000000002D4C: 8F308831
	s_mul_i32 s49, s48, s3                                     // 000000002D50: 92310330
	s_add_i32 s49, s49, s2                                     // 000000002D54: 81310231
	s_lshr_b32 s63, s44, 13                                    // 000000002D58: 8F3F8D2C
	s_lshl_b32 s47, s63, 5                                     // 000000002D5C: 8E2F853F
	s_mul_i32 s62, s62, s47                                    // 000000002D60: 923E2F3E
	s_cmp_lt_i32 s49, s62                                      // 000000002D64: BF043E31
	s_cbranch_scc0 label_0068                                  // 000000002D68: BF84000D
	s_and_b32 s62, s49, 0xff                                   // 000000002D6C: 863EFF31 000000FF
	s_and_b32 s47, s62, 31                                     // 000000002D74: 862F9F3E
	s_lshr_b32 s48, s62, 5                                     // 000000002D78: 8F30853E
	s_lshr_b32 s49, s49, 8                                     // 000000002D7C: 8F318831

0000000000002d80 <label_0060>:
	s_cmp_lt_i32 s49, s63                                      // 000000002D80: BF043F31
	s_cbranch_scc1 label_0065                                  // 000000002D84: BF850003
	s_sub_i32 s49, s49, s63                                    // 000000002D88: 81B13F31
	s_add_i32 s48, s48, 8                                      // 000000002D8C: 81308830
	s_branch label_0060                                        // 000000002D90: BF82FFFB

0000000000002d94 <label_0065>:
	s_mul_i32 s49, s49, 32                                     // 000000002D94: 9231A031
	s_add_i32 s47, s47, s49                                    // 000000002D98: 812F312F
	s_branch label_0074                                        // 000000002D9C: BF82000C

0000000000002da0 <label_0068>:
	s_sub_i32 s49, s49, s62                                    // 000000002DA0: 81B13E31
	s_sub_i32 s63, s48, s47                                    // 000000002DA4: 81BF2F30
	s_mov_b32 s48, 0                                           // 000000002DA8: BEB00080

0000000000002dac <label_006B>:
	s_cmp_lt_i32 s49, s63                                      // 000000002DAC: BF043F31
	s_cbranch_scc1 label_0070                                  // 000000002DB0: BF850003
	s_sub_i32 s49, s49, s63                                    // 000000002DB4: 81B13F31
	s_add_i32 s48, s48, 1                                      // 000000002DB8: 81308130
	s_branch label_006B                                        // 000000002DBC: BF82FFFB

0000000000002dc0 <label_0070>:
	s_add_i32 s47, s47, s49                                    // 000000002DC0: 812F312F
	s_branch label_0074                                        // 000000002DC4: BF820002

0000000000002dc8 <label_0072>:
	s_mov_b32 s47, s2                                          // 000000002DC8: BEAF0002
	s_mov_b32 s48, s3                                          // 000000002DCC: BEB00003

0000000000002dd0 <label_0074>:
	s_lshr_b32 s37, s37, 1                                     // 000000002DD0: 8F258125
	s_mul_i32 s62, s48, 0xe0                                   // 000000002DD4: 923EFF30 000000E0
	s_mul_hi_u32 s63, s37, s62                                 // 000000002DDC: 963F3E25
	s_add_u32 s13, s13, s63                                    // 000000002DE0: 800D3F0D
	s_mul_i32 s63, s37, s62                                    // 000000002DE4: 923F3E25
	s_add_u32 s12, s12, s63                                    // 000000002DE8: 800C3F0C
	s_addc_u32 s13, s13, 0                                     // 000000002DEC: 820D800D
	s_sub_i32 s63, s43, s62                                    // 000000002DF0: 81BF3E2B
	s_cmp_lt_u32 s63, 0xe0                                     // 000000002DF4: BF0AFF3F 000000E0
	s_cselect_b32 s62, s63, 0xe0                               // 000000002DFC: 853EFF3F 000000E0
	s_mul_i32 s14, s37, s62                                    // 000000002E04: 920E3E25
	s_mov_b32 s15, 0x20000                                     // 000000002E08: BE8F00FF 00020000
	v_lshrrev_b32_e32 v4, 3, v0                                // 000000002E10: 20080083
	v_lshrrev_b32_e32 v5, 2, v4                                // 000000002E14: 200A0882
	v_lshlrev_b32_e32 v5, 4, v5                                // 000000002E18: 240A0A84
	v_and_b32_e32 v4, 3, v4                                    // 000000002E1C: 26080883
	v_lshrrev_b32_e32 v6, 1, v4                                // 000000002E20: 200C0881
	v_lshlrev_b32_e32 v6, 2, v6                                // 000000002E24: 240C0C82
	v_add_u32_e32 v5, v5, v6                                   // 000000002E28: 680A0D05
	v_and_b32_e32 v4, 1, v4                                    // 000000002E2C: 26080881
	v_add_u32_e32 v5, v5, v4                                   // 000000002E30: 680A0905
	v_mul_lo_u32 v195, s37, v5                                 // 000000002E34: D28500C3 00020A25
	v_and_b32_e32 v4, 7, v0                                    // 000000002E3C: 26080087
	v_lshlrev_b32_e32 v4, 4, v4                                // 000000002E40: 24080884
	v_add_u32_e32 v195, v4, v195                               // 000000002E44: 69878704
	s_lshr_b32 s62, s46, 1                                     // 000000002E48: 8F3E812E
	s_mul_i32 s62, s62, 8                                      // 000000002E4C: 923E883E
	s_and_b32 s63, s46, 1                                      // 000000002E50: 863F812E
	s_mul_i32 s63, s63, 2                                      // 000000002E54: 923F823F
	s_add_u32 s62, s62, s63                                    // 000000002E58: 803E3F3E
	s_mul_i32 s62, s37, s62                                    // 000000002E5C: 923E3E25
	v_add_u32_e32 v195, s62, v195                              // 000000002E60: 6987863E
	s_mul_i32 s62, s37, 32                                     // 000000002E64: 923EA025
	v_add_u32_e32 v196, s62, v195                              // 000000002E68: 6989863E
	v_add_u32_e32 v197, s62, v196                              // 000000002E6C: 698B883E
	v_add_u32_e32 v198, s62, v197                              // 000000002E70: 698D8A3E
	v_add_u32_e32 v199, s62, v198                              // 000000002E74: 698F8C3E
	v_add_u32_e32 v200, s62, v199                              // 000000002E78: 69918E3E
	v_add_u32_e32 v201, s62, v200                              // 000000002E7C: 6993903E
	s_mul_i32 s64, 0x420, s46                                  // 000000002E80: 92402EFF 00000420
	s_add_u32 s64, 0x1000, s64                                 // 000000002E88: 804040FF 00001000
	v_and_b32_e32 v4, 15, v0                                   // 000000002E90: 2608008F
	v_lshrrev_b32_e32 v5, 3, v4                                // 000000002E94: 200A0883
	v_mul_i32_i24_e32 v5, 2, v5                                // 000000002E98: 0C0A0A82
	v_and_b32_e32 v4, 3, v0                                    // 000000002E9C: 26080083
	v_lshrrev_b32_e32 v6, 1, v4                                // 000000002EA0: 200C0881
	v_add_u32_e32 v4, v5, v6                                   // 000000002EA4: 68080D05
	v_mul_i32_i24_e32 v202, 0x420, v4                          // 000000002EA8: 0D9408FF 00000420
	v_and_b32_e32 v4, 7, v0                                    // 000000002EB0: 26080087
	v_lshrrev_b32_e32 v5, 2, v4                                // 000000002EB4: 200A0882
	v_mul_i32_i24_e32 v5, 0x100, v5                            // 000000002EB8: 0C0A0AFF 00000100
	v_add_u32_e32 v202, v5, v202                               // 000000002EC0: 69959505
	v_and_b32_e32 v4, 1, v0                                    // 000000002EC4: 26080081
	v_mul_i32_i24_e32 v6, 0x80, v4                             // 000000002EC8: 0C0C08FF 00000080
	v_add_u32_e32 v202, v6, v202                               // 000000002ED0: 69959506
	v_lshrrev_b32_e32 v4, 4, v0                                // 000000002ED4: 20080084
	v_mul_i32_i24_e32 v4, 16, v4                               // 000000002ED8: 0C080890
	v_add_u32_e32 v202, v4, v202                               // 000000002EDC: 69959504
	v_add_u32_e32 v202, 0x1000, v202                           // 000000002EE0: 699594FF 00001000
	v_add_u32_e32 v203, 0x7380, v202                           // 000000002EE8: 699794FF 00007380
	s_mul_i32 s62, s48, 0xe0                                   // 000000002EF0: 923EFF30 000000E0
	s_mul_hi_u32 s63, s39, s62                                 // 000000002EF8: 963F3E27
	s_add_u32 s21, s21, s63                                    // 000000002EFC: 80153F15
	s_mul_i32 s63, s39, s62                                    // 000000002F00: 923F3E27
	s_add_u32 s20, s20, s63                                    // 000000002F04: 80143F14
	s_addc_u32 s21, s21, 0                                     // 000000002F08: 82158015
	s_add_u32 s63, s43, 31                                     // 000000002F0C: 803F9F2B
	s_lshr_b32 s63, s63, 5                                     // 000000002F10: 8F3F853F
	s_lshl_b32 s63, s63, 5                                     // 000000002F14: 8E3F853F
	s_sub_i32 s63, s63, s62                                    // 000000002F18: 81BF3E3F
	s_cmp_lt_u32 s63, 0xe0                                     // 000000002F1C: BF0AFF3F 000000E0
	s_cselect_b32 s62, s63, 0xe0                               // 000000002F24: 853EFF3F 000000E0
	s_mul_i32 s22, s39, s62                                    // 000000002F2C: 92163E27
	s_mov_b32 s23, 0x20000                                     // 000000002F30: BE9700FF 00020000
	v_lshlrev_b32_e32 v204, 2, v0                              // 000000002F38: 25980082
	s_mul_i32 s63, s46, 32                                     // 000000002F3C: 923FA02E
	s_mul_i32 s63, s63, s39                                    // 000000002F40: 923F273F
	v_add_u32_e32 v204, s63, v204                              // 000000002F44: 6999983F
	s_mul_i32 s63, 0x80, s39                                   // 000000002F48: 923F27FF 00000080
	v_add_u32_e32 v205, s63, v204                              // 000000002F50: 699B983F
	s_mul_i32 s65, s46, 0x100                                  // 000000002F54: 9241FF2E 00000100
	s_add_i32 s65, s65, 0                                      // 000000002F5C: 81418041
	v_lshlrev_b32_e32 v206, 2, v0                              // 000000002F60: 259C0082
	v_add_u32_e32 v206, 0, v206                                // 000000002F64: 699D9C80
	s_lshr_b32 s38, s38, 1                                     // 000000002F68: 8F268126
	s_mul_i32 s62, s47, 0x100                                  // 000000002F6C: 923EFF2F 00000100
	s_mul_hi_u32 s63, s38, s62                                 // 000000002F74: 963F3E26
	s_add_u32 s17, s17, s63                                    // 000000002F78: 80113F11
	s_mul_i32 s63, s38, s62                                    // 000000002F7C: 923F3E26
	s_add_u32 s16, s16, s63                                    // 000000002F80: 80103F10
	s_addc_u32 s17, s17, 0                                     // 000000002F84: 82118011
	s_sub_i32 s63, s44, s62                                    // 000000002F88: 81BF3E2C
	s_cmp_lt_u32 s63, 0x100                                    // 000000002F8C: BF0AFF3F 00000100
	s_cselect_b32 s62, s63, 0x100                              // 000000002F94: 853EFF3F 00000100
	s_mul_i32 s18, s38, s62                                    // 000000002F9C: 92123E26
	s_mov_b32 s19, 0x20000                                     // 000000002FA0: BE9300FF 00020000
	v_lshlrev_b32_e32 v207, 4, v0                              // 000000002FA8: 259E0084
	s_mul_i32 s63, s46, 64                                     // 000000002FAC: 923FC02E
	s_mul_i32 s62, s63, s38                                    // 000000002FB0: 923E263F
	v_add_u32_e32 v207, s62, v207                              // 000000002FB4: 699F9E3E
	s_mul_i32 s62, 16, s38                                     // 000000002FB8: 923E2690
	v_add_u32_e32 v208, s62, v207                              // 000000002FBC: 69A19E3E
	v_add_u32_e32 v209, s62, v208                              // 000000002FC0: 69A3A03E
	v_add_u32_e32 v210, s62, v209                              // 000000002FC4: 69A5A23E
	s_mul_i32 s62, s47, 0x100                                  // 000000002FC8: 923EFF2F 00000100
	s_mul_hi_u32 s63, s40, s62                                 // 000000002FD0: 963F3E28
	s_add_u32 s25, s25, s63                                    // 000000002FD4: 80193F19
	s_mul_i32 s63, s40, s62                                    // 000000002FD8: 923F3E28
	s_add_u32 s24, s24, s63                                    // 000000002FDC: 80183F18
	s_addc_u32 s25, s25, 0                                     // 000000002FE0: 82198019
	s_sub_i32 s63, s44, s62                                    // 000000002FE4: 81BF3E2C
	s_cmp_lt_u32 s63, 0x100                                    // 000000002FE8: BF0AFF3F 00000100
	s_cselect_b32 s62, s63, 0x100                              // 000000002FF0: 853EFF3F 00000100
	s_mul_i32 s26, s40, s62                                    // 000000002FF8: 921A3E28
	s_mov_b32 s27, 0x20000                                     // 000000002FFC: BE9B00FF 00020000
	v_lshlrev_b32_e32 v211, 2, v0                              // 000000003004: 25A60082
	s_mul_i32 s63, s46, 64                                     // 000000003008: 923FC02E
	s_mul_i32 s63, s63, s40                                    // 00000000300C: 923F283F
	v_add_u32_e32 v211, s63, v211                              // 000000003010: 69A7A63F
	s_mul_i32 s62, 32, s40                                     // 000000003014: 923E28A0
	v_add_u32_e32 v212, s62, v211                              // 000000003018: 69A9A63E
	s_mov_b32 s66, 0x80                                        // 00000000301C: BEC200FF 00000080
	s_mov_b32 s67, 0x800                                       // 000000003024: BEC300FF 00000800
	s_mov_b32 s68, 0x100                                       // 00000000302C: BEC400FF 00000100
	s_mov_b32 s69, 0x100                                       // 000000003034: BEC500FF 00000100
	s_mov_b32 s60, 0                                           // 00000000303C: BEBC0080
	s_mov_b32 s61, s45                                         // 000000003040: BEBD002D
	s_add_u32 m0, 0, s65                                       // 000000003044: 807C4180
	buffer_load_dword v204, s[20:23], 0 offen lds              // 000000003048: E0511000 800500CC
	v_accvgpr_write_b32 a0, 0                                  // 000000003050: D3D94000 18000080
	v_accvgpr_write_b32 a1, 0                                  // 000000003058: D3D94001 18000080
	v_accvgpr_write_b32 a2, 0                                  // 000000003060: D3D94002 18000080
	v_accvgpr_write_b32 a3, 0                                  // 000000003068: D3D94003 18000080
	v_accvgpr_write_b32 a4, 0                                  // 000000003070: D3D94004 18000080
	v_accvgpr_write_b32 a5, 0                                  // 000000003078: D3D94005 18000080
	v_accvgpr_write_b32 a6, 0                                  // 000000003080: D3D94006 18000080
	v_accvgpr_write_b32 a7, 0                                  // 000000003088: D3D94007 18000080
	s_add_u32 m0, 0x400, s65                                   // 000000003090: 807C41FF 00000400
	buffer_load_dword v205, s[20:23], 0 offen lds              // 000000003098: E0511000 800500CD
	v_accvgpr_write_b32 a8, 0                                  // 0000000030A0: D3D94008 18000080
	v_accvgpr_write_b32 a9, 0                                  // 0000000030A8: D3D94009 18000080
	v_accvgpr_write_b32 a10, 0                                 // 0000000030B0: D3D9400A 18000080
	v_accvgpr_write_b32 a11, 0                                 // 0000000030B8: D3D9400B 18000080
	v_accvgpr_write_b32 a12, 0                                 // 0000000030C0: D3D9400C 18000080
	v_accvgpr_write_b32 a13, 0                                 // 0000000030C8: D3D9400D 18000080
	v_accvgpr_write_b32 a14, 0                                 // 0000000030D0: D3D9400E 18000080
	v_accvgpr_write_b32 a15, 0                                 // 0000000030D8: D3D9400F 18000080
	s_add_u32 m0, 0, s64                                       // 0000000030E0: 807C4080
	buffer_load_dwordx4 v195, s[12:15], 0 offen lds            // 0000000030E4: E05D1000 800300C3
	v_accvgpr_write_b32 a16, 0                                 // 0000000030EC: D3D94010 18000080
	v_accvgpr_write_b32 a17, 0                                 // 0000000030F4: D3D94011 18000080
	v_accvgpr_write_b32 a18, 0                                 // 0000000030FC: D3D94012 18000080
	v_accvgpr_write_b32 a19, 0                                 // 000000003104: D3D94013 18000080
	v_accvgpr_write_b32 a20, 0                                 // 00000000310C: D3D94014 18000080
	v_accvgpr_write_b32 a21, 0                                 // 000000003114: D3D94015 18000080
	v_accvgpr_write_b32 a22, 0                                 // 00000000311C: D3D94016 18000080
	v_accvgpr_write_b32 a23, 0                                 // 000000003124: D3D94017 18000080
	s_add_u32 m0, 0x1080, s64                                  // 00000000312C: 807C40FF 00001080
	buffer_load_dwordx4 v196, s[12:15], 0 offen lds            // 000000003134: E05D1000 800300C4
	v_accvgpr_write_b32 a24, 0                                 // 00000000313C: D3D94018 18000080
	v_accvgpr_write_b32 a25, 0                                 // 000000003144: D3D94019 18000080
	v_accvgpr_write_b32 a26, 0                                 // 00000000314C: D3D9401A 18000080
	v_accvgpr_write_b32 a27, 0                                 // 000000003154: D3D9401B 18000080
	v_accvgpr_write_b32 a28, 0                                 // 00000000315C: D3D9401C 18000080
	v_accvgpr_write_b32 a29, 0                                 // 000000003164: D3D9401D 18000080
	v_accvgpr_write_b32 a30, 0                                 // 00000000316C: D3D9401E 18000080
	v_accvgpr_write_b32 a31, 0                                 // 000000003174: D3D9401F 18000080
	s_add_u32 m0, 0x2100, s64                                  // 00000000317C: 807C40FF 00002100
	buffer_load_dwordx4 v197, s[12:15], 0 offen lds            // 000000003184: E05D1000 800300C5
	v_accvgpr_write_b32 a32, 0                                 // 00000000318C: D3D94020 18000080
	v_accvgpr_write_b32 a33, 0                                 // 000000003194: D3D94021 18000080
	v_accvgpr_write_b32 a34, 0                                 // 00000000319C: D3D94022 18000080
	v_accvgpr_write_b32 a35, 0                                 // 0000000031A4: D3D94023 18000080
	v_accvgpr_write_b32 a36, 0                                 // 0000000031AC: D3D94024 18000080
	v_accvgpr_write_b32 a37, 0                                 // 0000000031B4: D3D94025 18000080
	v_accvgpr_write_b32 a38, 0                                 // 0000000031BC: D3D94026 18000080
	v_accvgpr_write_b32 a39, 0                                 // 0000000031C4: D3D94027 18000080
	s_add_u32 m0, 0x3180, s64                                  // 0000000031CC: 807C40FF 00003180
	buffer_load_dwordx4 v198, s[12:15], 0 offen lds            // 0000000031D4: E05D1000 800300C6
	v_accvgpr_write_b32 a40, 0                                 // 0000000031DC: D3D94028 18000080
	v_accvgpr_write_b32 a41, 0                                 // 0000000031E4: D3D94029 18000080
	v_accvgpr_write_b32 a42, 0                                 // 0000000031EC: D3D9402A 18000080
	v_accvgpr_write_b32 a43, 0                                 // 0000000031F4: D3D9402B 18000080
	v_accvgpr_write_b32 a44, 0                                 // 0000000031FC: D3D9402C 18000080
	v_accvgpr_write_b32 a45, 0                                 // 000000003204: D3D9402D 18000080
	v_accvgpr_write_b32 a46, 0                                 // 00000000320C: D3D9402E 18000080
	v_accvgpr_write_b32 a47, 0                                 // 000000003214: D3D9402F 18000080
	s_add_u32 m0, 0x4200, s64                                  // 00000000321C: 807C40FF 00004200
	buffer_load_dwordx4 v199, s[12:15], 0 offen lds            // 000000003224: E05D1000 800300C7
	v_accvgpr_write_b32 a48, 0                                 // 00000000322C: D3D94030 18000080
	v_accvgpr_write_b32 a49, 0                                 // 000000003234: D3D94031 18000080
	v_accvgpr_write_b32 a50, 0                                 // 00000000323C: D3D94032 18000080
	v_accvgpr_write_b32 a51, 0                                 // 000000003244: D3D94033 18000080
	v_accvgpr_write_b32 a52, 0                                 // 00000000324C: D3D94034 18000080
	v_accvgpr_write_b32 a53, 0                                 // 000000003254: D3D94035 18000080
	v_accvgpr_write_b32 a54, 0                                 // 00000000325C: D3D94036 18000080
	v_accvgpr_write_b32 a55, 0                                 // 000000003264: D3D94037 18000080
	s_add_u32 m0, 0x5280, s64                                  // 00000000326C: 807C40FF 00005280
	buffer_load_dwordx4 v200, s[12:15], 0 offen lds            // 000000003274: E05D1000 800300C8
	v_accvgpr_write_b32 a56, 0                                 // 00000000327C: D3D94038 18000080
	v_accvgpr_write_b32 a57, 0                                 // 000000003284: D3D94039 18000080
	v_accvgpr_write_b32 a58, 0                                 // 00000000328C: D3D9403A 18000080
	v_accvgpr_write_b32 a59, 0                                 // 000000003294: D3D9403B 18000080
	v_accvgpr_write_b32 a60, 0                                 // 00000000329C: D3D9403C 18000080
	v_accvgpr_write_b32 a61, 0                                 // 0000000032A4: D3D9403D 18000080
	v_accvgpr_write_b32 a62, 0                                 // 0000000032AC: D3D9403E 18000080
	v_accvgpr_write_b32 a63, 0                                 // 0000000032B4: D3D9403F 18000080
	s_add_u32 m0, 0x6300, s64                                  // 0000000032BC: 807C40FF 00006300
	buffer_load_dwordx4 v201, s[12:15], 0 offen lds            // 0000000032C4: E05D1000 800300C9
	v_accvgpr_write_b32 a64, 0                                 // 0000000032CC: D3D94040 18000080
	v_accvgpr_write_b32 a65, 0                                 // 0000000032D4: D3D94041 18000080
	v_accvgpr_write_b32 a66, 0                                 // 0000000032DC: D3D94042 18000080
	v_accvgpr_write_b32 a67, 0                                 // 0000000032E4: D3D94043 18000080
	v_accvgpr_write_b32 a68, 0                                 // 0000000032EC: D3D94044 18000080
	v_accvgpr_write_b32 a69, 0                                 // 0000000032F4: D3D94045 18000080
	v_accvgpr_write_b32 a70, 0                                 // 0000000032FC: D3D94046 18000080
	v_accvgpr_write_b32 a71, 0                                 // 000000003304: D3D94047 18000080
	s_add_u32 s62, 0x100, s60                                  // 00000000330C: 803E3CFF 00000100
	s_cmp_lt_u32 s62, s61                                      // 000000003314: BF0A3D3E
	s_cselect_b32 s66, s66, 0                                  // 000000003318: 85428042
	s_cselect_b32 s68, s68, 0                                  // 00000000331C: 85448044
	s_add_u32 s12, s12, s66                                    // 000000003320: 800C420C
	s_addc_u32 s13, 0, s13                                     // 000000003324: 820D0D80
	s_sub_u32 s14, s14, s66                                    // 000000003328: 808E420E
	s_add_u32 s20, s20, s68                                    // 00000000332C: 80144414
	s_addc_u32 s21, 0, s21                                     // 000000003330: 82151580
	s_sub_u32 s22, s22, s68                                    // 000000003334: 80964416
	buffer_load_dwordx4 v[120:123], v207, s[16:19], 0 offen    // 000000003338: E05C1000 800478CF
	v_accvgpr_write_b32 a72, 0                                 // 000000003340: D3D94048 18000080
	v_accvgpr_write_b32 a73, 0                                 // 000000003348: D3D94049 18000080
	v_accvgpr_write_b32 a74, 0                                 // 000000003350: D3D9404A 18000080
	v_accvgpr_write_b32 a75, 0                                 // 000000003358: D3D9404B 18000080
	v_accvgpr_write_b32 a76, 0                                 // 000000003360: D3D9404C 18000080
	v_accvgpr_write_b32 a77, 0                                 // 000000003368: D3D9404D 18000080
	v_accvgpr_write_b32 a78, 0                                 // 000000003370: D3D9404E 18000080
	v_accvgpr_write_b32 a79, 0                                 // 000000003378: D3D9404F 18000080
	buffer_load_dwordx4 v[124:127], v208, s[16:19], 0 offen    // 000000003380: E05C1000 80047CD0
	v_accvgpr_write_b32 a80, 0                                 // 000000003388: D3D94050 18000080
	v_accvgpr_write_b32 a81, 0                                 // 000000003390: D3D94051 18000080
	v_accvgpr_write_b32 a82, 0                                 // 000000003398: D3D94052 18000080
	v_accvgpr_write_b32 a83, 0                                 // 0000000033A0: D3D94053 18000080
	v_accvgpr_write_b32 a84, 0                                 // 0000000033A8: D3D94054 18000080
	v_accvgpr_write_b32 a85, 0                                 // 0000000033B0: D3D94055 18000080
	v_accvgpr_write_b32 a86, 0                                 // 0000000033B8: D3D94056 18000080
	v_accvgpr_write_b32 a87, 0                                 // 0000000033C0: D3D94057 18000080
	buffer_load_dwordx4 v[128:131], v207, s[16:19], 0 offen offset:1024// 0000000033C8: E05C1400 800480CF
	v_accvgpr_write_b32 a88, 0                                 // 0000000033D0: D3D94058 18000080
	v_accvgpr_write_b32 a89, 0                                 // 0000000033D8: D3D94059 18000080
	v_accvgpr_write_b32 a90, 0                                 // 0000000033E0: D3D9405A 18000080
	v_accvgpr_write_b32 a91, 0                                 // 0000000033E8: D3D9405B 18000080
	v_accvgpr_write_b32 a92, 0                                 // 0000000033F0: D3D9405C 18000080
	v_accvgpr_write_b32 a93, 0                                 // 0000000033F8: D3D9405D 18000080
	v_accvgpr_write_b32 a94, 0                                 // 000000003400: D3D9405E 18000080
	v_accvgpr_write_b32 a95, 0                                 // 000000003408: D3D9405F 18000080
	buffer_load_dwordx4 v[132:135], v208, s[16:19], 0 offen offset:1024// 000000003410: E05C1400 800484D0
	v_accvgpr_write_b32 a96, 0                                 // 000000003418: D3D94060 18000080
	v_accvgpr_write_b32 a97, 0                                 // 000000003420: D3D94061 18000080
	v_accvgpr_write_b32 a98, 0                                 // 000000003428: D3D94062 18000080
	v_accvgpr_write_b32 a99, 0                                 // 000000003430: D3D94063 18000080
	v_accvgpr_write_b32 a100, 0                                // 000000003438: D3D94064 18000080
	v_accvgpr_write_b32 a101, 0                                // 000000003440: D3D94065 18000080
	v_accvgpr_write_b32 a102, 0                                // 000000003448: D3D94066 18000080
	v_accvgpr_write_b32 a103, 0                                // 000000003450: D3D94067 18000080
	buffer_load_dword v191, v211, s[24:27], 0 offen            // 000000003458: E0501000 8006BFD3
	v_accvgpr_write_b32 a104, 0                                // 000000003460: D3D94068 18000080
	v_accvgpr_write_b32 a105, 0                                // 000000003468: D3D94069 18000080
	v_accvgpr_write_b32 a106, 0                                // 000000003470: D3D9406A 18000080
	v_accvgpr_write_b32 a107, 0                                // 000000003478: D3D9406B 18000080
	v_accvgpr_write_b32 a108, 0                                // 000000003480: D3D9406C 18000080
	v_accvgpr_write_b32 a109, 0                                // 000000003488: D3D9406D 18000080
	v_accvgpr_write_b32 a110, 0                                // 000000003490: D3D9406E 18000080
	v_accvgpr_write_b32 a111, 0                                // 000000003498: D3D9406F 18000080
	buffer_load_dwordx4 v[136:139], v209, s[16:19], 0 offen    // 0000000034A0: E05C1000 800488D1
	v_accvgpr_write_b32 a112, 0                                // 0000000034A8: D3D94070 18000080
	v_accvgpr_write_b32 a113, 0                                // 0000000034B0: D3D94071 18000080
	v_accvgpr_write_b32 a114, 0                                // 0000000034B8: D3D94072 18000080
	v_accvgpr_write_b32 a115, 0                                // 0000000034C0: D3D94073 18000080
	v_accvgpr_write_b32 a116, 0                                // 0000000034C8: D3D94074 18000080
	v_accvgpr_write_b32 a117, 0                                // 0000000034D0: D3D94075 18000080
	v_accvgpr_write_b32 a118, 0                                // 0000000034D8: D3D94076 18000080
	v_accvgpr_write_b32 a119, 0                                // 0000000034E0: D3D94077 18000080
	buffer_load_dwordx4 v[140:143], v210, s[16:19], 0 offen    // 0000000034E8: E05C1000 80048CD2
	v_accvgpr_write_b32 a120, 0                                // 0000000034F0: D3D94078 18000080
	v_accvgpr_write_b32 a121, 0                                // 0000000034F8: D3D94079 18000080
	v_accvgpr_write_b32 a122, 0                                // 000000003500: D3D9407A 18000080
	v_accvgpr_write_b32 a123, 0                                // 000000003508: D3D9407B 18000080
	v_accvgpr_write_b32 a124, 0                                // 000000003510: D3D9407C 18000080
	v_accvgpr_write_b32 a125, 0                                // 000000003518: D3D9407D 18000080
	v_accvgpr_write_b32 a126, 0                                // 000000003520: D3D9407E 18000080
	v_accvgpr_write_b32 a127, 0                                // 000000003528: D3D9407F 18000080
	buffer_load_dwordx4 v[144:147], v209, s[16:19], 0 offen offset:1024// 000000003530: E05C1400 800490D1
	v_accvgpr_write_b32 a128, 0                                // 000000003538: D3D94080 18000080
	v_accvgpr_write_b32 a129, 0                                // 000000003540: D3D94081 18000080
	v_accvgpr_write_b32 a130, 0                                // 000000003548: D3D94082 18000080
	v_accvgpr_write_b32 a131, 0                                // 000000003550: D3D94083 18000080
	v_accvgpr_write_b32 a132, 0                                // 000000003558: D3D94084 18000080
	v_accvgpr_write_b32 a133, 0                                // 000000003560: D3D94085 18000080
	v_accvgpr_write_b32 a134, 0                                // 000000003568: D3D94086 18000080
	v_accvgpr_write_b32 a135, 0                                // 000000003570: D3D94087 18000080
	buffer_load_dwordx4 v[148:151], v210, s[16:19], 0 offen offset:1024// 000000003578: E05C1400 800494D2
	v_accvgpr_write_b32 a136, 0                                // 000000003580: D3D94088 18000080
	v_accvgpr_write_b32 a137, 0                                // 000000003588: D3D94089 18000080
	v_accvgpr_write_b32 a138, 0                                // 000000003590: D3D9408A 18000080
	v_accvgpr_write_b32 a139, 0                                // 000000003598: D3D9408B 18000080
	v_accvgpr_write_b32 a140, 0                                // 0000000035A0: D3D9408C 18000080
	v_accvgpr_write_b32 a141, 0                                // 0000000035A8: D3D9408D 18000080
	v_accvgpr_write_b32 a142, 0                                // 0000000035B0: D3D9408E 18000080
	v_accvgpr_write_b32 a143, 0                                // 0000000035B8: D3D9408F 18000080
	buffer_load_dword v192, v212, s[24:27], 0 offen            // 0000000035C0: E0501000 8006C0D4
	v_accvgpr_write_b32 a144, 0                                // 0000000035C8: D3D94090 18000080
	v_accvgpr_write_b32 a145, 0                                // 0000000035D0: D3D94091 18000080
	v_accvgpr_write_b32 a146, 0                                // 0000000035D8: D3D94092 18000080
	v_accvgpr_write_b32 a147, 0                                // 0000000035E0: D3D94093 18000080
	v_accvgpr_write_b32 a148, 0                                // 0000000035E8: D3D94094 18000080
	v_accvgpr_write_b32 a149, 0                                // 0000000035F0: D3D94095 18000080
	v_accvgpr_write_b32 a150, 0                                // 0000000035F8: D3D94096 18000080
	v_accvgpr_write_b32 a151, 0                                // 000000003600: D3D94097 18000080
	s_add_u32 s63, 0x100, s60                                  // 000000003608: 803F3CFF 00000100
	s_cmp_lt_u32 s63, s61                                      // 000000003610: BF0A3D3F
	s_cselect_b32 s67, s67, 0                                  // 000000003614: 85438043
	s_cselect_b32 s69, s69, 0                                  // 000000003618: 85458045
	s_add_u32 s16, s16, s67                                    // 00000000361C: 80104310
	s_addc_u32 s17, 0, s17                                     // 000000003620: 82111180
	s_sub_u32 s18, s18, s67                                    // 000000003624: 80924312
	s_add_u32 s24, s24, s69                                    // 000000003628: 80184518
	s_addc_u32 s25, 0, s25                                     // 00000000362C: 82191980
	s_sub_u32 s26, s26, s69                                    // 000000003630: 809A451A
	s_add_u32 m0, 0x800, s65                                   // 000000003634: 807C41FF 00000800
	buffer_load_dword v204, s[20:23], 0 offen lds              // 00000000363C: E0511000 800500CC
	v_accvgpr_write_b32 a152, 0                                // 000000003644: D3D94098 18000080
	v_accvgpr_write_b32 a153, 0                                // 00000000364C: D3D94099 18000080
	v_accvgpr_write_b32 a154, 0                                // 000000003654: D3D9409A 18000080
	v_accvgpr_write_b32 a155, 0                                // 00000000365C: D3D9409B 18000080
	v_accvgpr_write_b32 a156, 0                                // 000000003664: D3D9409C 18000080
	v_accvgpr_write_b32 a157, 0                                // 00000000366C: D3D9409D 18000080
	v_accvgpr_write_b32 a158, 0                                // 000000003674: D3D9409E 18000080
	v_accvgpr_write_b32 a159, 0                                // 00000000367C: D3D9409F 18000080
	s_add_u32 m0, 0xc00, s65                                   // 000000003684: 807C41FF 00000C00
	buffer_load_dword v205, s[20:23], 0 offen lds              // 00000000368C: E0511000 800500CD
	v_accvgpr_write_b32 a160, 0                                // 000000003694: D3D940A0 18000080
	v_accvgpr_write_b32 a161, 0                                // 00000000369C: D3D940A1 18000080
	v_accvgpr_write_b32 a162, 0                                // 0000000036A4: D3D940A2 18000080
	v_accvgpr_write_b32 a163, 0                                // 0000000036AC: D3D940A3 18000080
	v_accvgpr_write_b32 a164, 0                                // 0000000036B4: D3D940A4 18000080
	v_accvgpr_write_b32 a165, 0                                // 0000000036BC: D3D940A5 18000080
	v_accvgpr_write_b32 a166, 0                                // 0000000036C4: D3D940A6 18000080
	v_accvgpr_write_b32 a167, 0                                // 0000000036CC: D3D940A7 18000080
	s_add_u32 m0, 0x7380, s64                                  // 0000000036D4: 807C40FF 00007380
	buffer_load_dwordx4 v195, s[12:15], 0 offen lds            // 0000000036DC: E05D1000 800300C3
	v_accvgpr_write_b32 a168, 0                                // 0000000036E4: D3D940A8 18000080
	v_accvgpr_write_b32 a169, 0                                // 0000000036EC: D3D940A9 18000080
	v_accvgpr_write_b32 a170, 0                                // 0000000036F4: D3D940AA 18000080
	v_accvgpr_write_b32 a171, 0                                // 0000000036FC: D3D940AB 18000080
	v_accvgpr_write_b32 a172, 0                                // 000000003704: D3D940AC 18000080
	v_accvgpr_write_b32 a173, 0                                // 00000000370C: D3D940AD 18000080
	v_accvgpr_write_b32 a174, 0                                // 000000003714: D3D940AE 18000080
	v_accvgpr_write_b32 a175, 0                                // 00000000371C: D3D940AF 18000080
	s_add_u32 m0, 0x8400, s64                                  // 000000003724: 807C40FF 00008400
	buffer_load_dwordx4 v196, s[12:15], 0 offen lds            // 00000000372C: E05D1000 800300C4
	v_accvgpr_write_b32 a176, 0                                // 000000003734: D3D940B0 18000080
	v_accvgpr_write_b32 a177, 0                                // 00000000373C: D3D940B1 18000080
	v_accvgpr_write_b32 a178, 0                                // 000000003744: D3D940B2 18000080
	v_accvgpr_write_b32 a179, 0                                // 00000000374C: D3D940B3 18000080
	v_accvgpr_write_b32 a180, 0                                // 000000003754: D3D940B4 18000080
	v_accvgpr_write_b32 a181, 0                                // 00000000375C: D3D940B5 18000080
	v_accvgpr_write_b32 a182, 0                                // 000000003764: D3D940B6 18000080
	v_accvgpr_write_b32 a183, 0                                // 00000000376C: D3D940B7 18000080
	s_add_u32 m0, 0x9480, s64                                  // 000000003774: 807C40FF 00009480
	buffer_load_dwordx4 v197, s[12:15], 0 offen lds            // 00000000377C: E05D1000 800300C5
	v_accvgpr_write_b32 a184, 0                                // 000000003784: D3D940B8 18000080
	v_accvgpr_write_b32 a185, 0                                // 00000000378C: D3D940B9 18000080
	v_accvgpr_write_b32 a186, 0                                // 000000003794: D3D940BA 18000080
	v_accvgpr_write_b32 a187, 0                                // 00000000379C: D3D940BB 18000080
	v_accvgpr_write_b32 a188, 0                                // 0000000037A4: D3D940BC 18000080
	v_accvgpr_write_b32 a189, 0                                // 0000000037AC: D3D940BD 18000080
	v_accvgpr_write_b32 a190, 0                                // 0000000037B4: D3D940BE 18000080
	v_accvgpr_write_b32 a191, 0                                // 0000000037BC: D3D940BF 18000080
	s_add_u32 m0, 0xa500, s64                                  // 0000000037C4: 807C40FF 0000A500
	buffer_load_dwordx4 v198, s[12:15], 0 offen lds            // 0000000037CC: E05D1000 800300C6
	v_accvgpr_write_b32 a192, 0                                // 0000000037D4: D3D940C0 18000080
	v_accvgpr_write_b32 a193, 0                                // 0000000037DC: D3D940C1 18000080
	v_accvgpr_write_b32 a194, 0                                // 0000000037E4: D3D940C2 18000080
	v_accvgpr_write_b32 a195, 0                                // 0000000037EC: D3D940C3 18000080
	v_accvgpr_write_b32 a196, 0                                // 0000000037F4: D3D940C4 18000080
	v_accvgpr_write_b32 a197, 0                                // 0000000037FC: D3D940C5 18000080
	v_accvgpr_write_b32 a198, 0                                // 000000003804: D3D940C6 18000080
	v_accvgpr_write_b32 a199, 0                                // 00000000380C: D3D940C7 18000080
	s_add_u32 m0, 0xb580, s64                                  // 000000003814: 807C40FF 0000B580
	buffer_load_dwordx4 v199, s[12:15], 0 offen lds            // 00000000381C: E05D1000 800300C7
	v_accvgpr_write_b32 a200, 0                                // 000000003824: D3D940C8 18000080
	v_accvgpr_write_b32 a201, 0                                // 00000000382C: D3D940C9 18000080
	v_accvgpr_write_b32 a202, 0                                // 000000003834: D3D940CA 18000080
	v_accvgpr_write_b32 a203, 0                                // 00000000383C: D3D940CB 18000080
	v_accvgpr_write_b32 a204, 0                                // 000000003844: D3D940CC 18000080
	v_accvgpr_write_b32 a205, 0                                // 00000000384C: D3D940CD 18000080
	v_accvgpr_write_b32 a206, 0                                // 000000003854: D3D940CE 18000080
	v_accvgpr_write_b32 a207, 0                                // 00000000385C: D3D940CF 18000080
	s_add_u32 m0, 0xc600, s64                                  // 000000003864: 807C40FF 0000C600
	buffer_load_dwordx4 v200, s[12:15], 0 offen lds            // 00000000386C: E05D1000 800300C8
	v_accvgpr_write_b32 a208, 0                                // 000000003874: D3D940D0 18000080
	v_accvgpr_write_b32 a209, 0                                // 00000000387C: D3D940D1 18000080
	v_accvgpr_write_b32 a210, 0                                // 000000003884: D3D940D2 18000080
	v_accvgpr_write_b32 a211, 0                                // 00000000388C: D3D940D3 18000080
	v_accvgpr_write_b32 a212, 0                                // 000000003894: D3D940D4 18000080
	v_accvgpr_write_b32 a213, 0                                // 00000000389C: D3D940D5 18000080
	v_accvgpr_write_b32 a214, 0                                // 0000000038A4: D3D940D6 18000080
	v_accvgpr_write_b32 a215, 0                                // 0000000038AC: D3D940D7 18000080
	s_add_u32 m0, 0xd680, s64                                  // 0000000038B4: 807C40FF 0000D680
	buffer_load_dwordx4 v201, s[12:15], 0 offen lds            // 0000000038BC: E05D1000 800300C9
	v_accvgpr_write_b32 a216, 0                                // 0000000038C4: D3D940D8 18000080
	v_accvgpr_write_b32 a217, 0                                // 0000000038CC: D3D940D9 18000080
	v_accvgpr_write_b32 a218, 0                                // 0000000038D4: D3D940DA 18000080
	v_accvgpr_write_b32 a219, 0                                // 0000000038DC: D3D940DB 18000080
	v_accvgpr_write_b32 a220, 0                                // 0000000038E4: D3D940DC 18000080
	v_accvgpr_write_b32 a221, 0                                // 0000000038EC: D3D940DD 18000080
	v_accvgpr_write_b32 a222, 0                                // 0000000038F4: D3D940DE 18000080
	v_accvgpr_write_b32 a223, 0                                // 0000000038FC: D3D940DF 18000080
	s_add_u32 s62, 0x200, s60                                  // 000000003904: 803E3CFF 00000200
	s_cmp_lt_u32 s62, s61                                      // 00000000390C: BF0A3D3E
	s_cselect_b32 s66, s66, 0                                  // 000000003910: 85428042
	s_cselect_b32 s68, s68, 0                                  // 000000003914: 85448044
	s_add_u32 s12, s12, s66                                    // 000000003918: 800C420C
	s_addc_u32 s13, 0, s13                                     // 00000000391C: 820D0D80
	s_sub_u32 s14, s14, s66                                    // 000000003920: 808E420E
	s_add_u32 s20, s20, s68                                    // 000000003924: 80144414
	s_addc_u32 s21, 0, s21                                     // 000000003928: 82151580
	s_sub_u32 s22, s22, s68                                    // 00000000392C: 80964416
	buffer_load_dwordx4 v[152:155], v207, s[16:19], 0 offen    // 000000003930: E05C1000 800498CF
	buffer_load_dwordx4 v[156:159], v208, s[16:19], 0 offen    // 000000003938: E05C1000 80049CD0
	buffer_load_dwordx4 v[160:163], v207, s[16:19], 0 offen offset:1024// 000000003940: E05C1400 8004A0CF
	buffer_load_dwordx4 v[164:167], v208, s[16:19], 0 offen offset:1024// 000000003948: E05C1400 8004A4D0
	buffer_load_dword v193, v211, s[24:27], 0 offen            // 000000003950: E0501000 8006C1D3
	s_waitcnt vmcnt(29)                                        // 000000003958: BF8C4F7D
	s_barrier                                                  // 00000000395C: BF8A0000
	ds_read_b128 v[8:11], v202                                 // 000000003960: D9FE0000 080000CA
	ds_read_b128 v[16:19], v202 offset:64                      // 000000003968: D9FE0040 100000CA
	ds_read_b128 v[12:15], v202 offset:512                     // 000000003970: D9FE0200 0C0000CA
	ds_read_b128 v[20:23], v202 offset:576                     // 000000003978: D9FE0240 140000CA
	ds_read_b32 v184, v206                                     // 000000003980: D86C0000 B80000CE
	ds_read_b128 v[24:27], v202 offset:4224                    // 000000003988: D9FE1080 180000CA
	ds_read_b128 v[32:35], v202 offset:4288                    // 000000003990: D9FE10C0 200000CA
	ds_read_b128 v[28:31], v202 offset:4736                    // 000000003998: D9FE1280 1C0000CA
	ds_read_b128 v[36:39], v202 offset:4800                    // 0000000039A0: D9FE12C0 240000CA
	ds_read_b32 v185, v206 offset:256                          // 0000000039A8: D86C0100 B90000CE
	s_nop 0                                                    // 0000000039B0: BF800000
	s_nop 0                                                    // 0000000039B4: BF800000
	s_nop 0                                                    // 0000000039B8: BF800000
	s_nop 0                                                    // 0000000039BC: BF800000
	s_nop 0                                                    // 0000000039C0: BF800000
	s_lshl_b32 s36, s36, 1                                     // 0000000039C4: 8E248124
	s_and_b32 s5, s5, 0xffff                                   // 0000000039C8: 8605FF05 0000FFFF
	s_or_b32 s5, s5, 0x40000                                   // 0000000039D0: 8705FF05 00040000
	s_mul_i32 s62, s48, 0xe0                                   // 0000000039D8: 923EFF30 000000E0
	s_mul_hi_u32 s63, s36, s62                                 // 0000000039E0: 963F3E24
	s_add_u32 s5, s5, s63                                      // 0000000039E4: 80053F05
	s_mul_i32 s63, s36, s62                                    // 0000000039E8: 923F3E24
	s_add_u32 s4, s4, s63                                      // 0000000039EC: 80043F04
	s_addc_u32 s5, s5, 0                                       // 0000000039F0: 82058005
	s_mul_i32 s63, s47, 0x100                                  // 0000000039F4: 923FFF2F 00000100
	s_lshl_b32 s63, s63, 1                                     // 0000000039FC: 8E3F813F
	s_add_u32 s4, s4, s63                                      // 000000003A00: 80043F04
	s_addc_u32 s5, s5, 0                                       // 000000003A04: 82058005
	s_sub_i32 s62, s43, s62                                    // 000000003A08: 81BE3E2B
	s_cmp_lt_u32 s62, 0xe0                                     // 000000003A0C: BF0AFF3E 000000E0
	s_cselect_b32 s62, s62, 0xe0                               // 000000003A14: 853EFF3E 000000E0
	s_mul_i32 s62, s36, s62                                    // 000000003A1C: 923E3E24
	s_sub_i32 s62, s62, s63                                    // 000000003A20: 81BE3F3E
	s_mov_b32 s6, s62                                          // 000000003A24: BE86003E
	s_mov_b32 s7, 0x20000                                      // 000000003A28: BE8700FF 00020000
	v_lshrrev_b32_e32 v4, 3, v0                                // 000000003A30: 20080083
	v_mul_lo_u32 v213, v4, s36                                 // 000000003A34: D28500D5 00004904
	s_mul_i32 s62, s46, 64                                     // 000000003A3C: 923EC02E
	s_lshl_b32 s62, s62, 1                                     // 000000003A40: 8E3E813E
	v_and_b32_e32 v4, 7, v0                                    // 000000003A44: 26080087
	v_mul_i32_i24_e32 v4, 16, v4                               // 000000003A48: 0C080890
	v_add_u32_e32 v4, s62, v4                                  // 000000003A4C: 6808083E
	v_add_u32_e32 v213, v213, v4                               // 000000003A50: 69AA09D5
	s_mul_i32 s62, s36, 8                                      // 000000003A54: 923E8824
	v_add_u32_e32 v214, s62, v213                              // 000000003A58: 69ADAA3E
	v_add_u32_e32 v215, s62, v214                              // 000000003A5C: 69AFAC3E
	v_add_u32_e32 v216, s62, v215                              // 000000003A60: 69B1AE3E
	v_add_u32_e32 v217, s62, v216                              // 000000003A64: 69B3B03E
	v_add_u32_e32 v218, s62, v217                              // 000000003A68: 69B5B23E
	v_add_u32_e32 v219, s62, v218                              // 000000003A6C: 69B7B43E
	v_add_u32_e32 v220, s62, v219                              // 000000003A70: 69B9B63E
	v_add_u32_e32 v221, s62, v220                              // 000000003A74: 69BBB83E
	v_add_u32_e32 v222, s62, v221                              // 000000003A78: 69BDBA3E
	v_add_u32_e32 v223, s62, v222                              // 000000003A7C: 69BFBC3E
	v_add_u32_e32 v224, s62, v223                              // 000000003A80: 69C1BE3E
	v_add_u32_e32 v225, s62, v224                              // 000000003A84: 69C3C03E
	v_add_u32_e32 v226, s62, v225                              // 000000003A88: 69C5C23E
	v_add_u32_e32 v227, s62, v226                              // 000000003A8C: 69C7C43E
	v_add_u32_e32 v228, s62, v227                              // 000000003A90: 69C9C63E
	v_add_u32_e32 v229, s62, v228                              // 000000003A94: 69CBC83E
	v_add_u32_e32 v230, s62, v229                              // 000000003A98: 69CDCA3E
	v_add_u32_e32 v231, s62, v230                              // 000000003A9C: 69CFCC3E
	v_add_u32_e32 v232, s62, v231                              // 000000003AA0: 69D1CE3E
	v_add_u32_e32 v233, s62, v232                              // 000000003AA4: 69D3D03E
	v_add_u32_e32 v234, s62, v233                              // 000000003AA8: 69D5D23E
	v_add_u32_e32 v235, s62, v234                              // 000000003AAC: 69D7D43E
	v_add_u32_e32 v236, s62, v235                              // 000000003AB0: 69D9D63E
	v_add_u32_e32 v237, s62, v236                              // 000000003AB4: 69DBD83E
	v_add_u32_e32 v238, s62, v237                              // 000000003AB8: 69DDDA3E
	v_add_u32_e32 v239, s62, v238                              // 000000003ABC: 69DFDC3E
	v_add_u32_e32 v240, s62, v239                              // 000000003AC0: 69E1DE3E
	s_cmp_lt_i32 s46, 2                                        // 000000003AC4: BF04822E
	s_cbranch_scc0 label_0878                                  // 000000003AC8: BF8404C5

0000000000003acc <label_03B3>:
	s_waitcnt vmcnt(19)                                        // 000000003ACC: BF8C4F73
	s_barrier                                                  // 000000003AD0: BF8A0000
	s_waitcnt lgkmcnt(5)                                       // 000000003AD4: BF8CC57F
	v_mfma_scale_f32_16x16x128_f8f6f4 a[0:3], v[120:123], v[8:11], a[0:3], v191, v184 op_sel_hi:[0,0,0] cbsz:4 blgp:4// 000000003AD8: D3AC6000 000371BF D3AD8C00 84021178
	ds_read_b128 v[40:43], v202 offset:8448                    // 000000003AE8: D9FE2100 280000CA
	v_mfma_scale_f32_16x16x128_f8f6f4 a[4:7], v[120:123], v[12:15], a[4:7], v191, v184 op_sel_hi:[0,0,0] cbsz:4 blgp:4// 000000003AF0: D3AC7000 000371BF D3AD8C04 84121978
	buffer_load_dwordx4 v[168:171], v209, s[16:19], 0 offen    // 000000003B00: E05C1000 8004A8D1
	v_mfma_scale_f32_16x16x128_f8f6f4 a[8:11], v[124:127], v[8:11], a[8:11], v191, v184 op_sel_hi:[0,0,0] cbsz:4 blgp:4// 000000003B08: D3AC0800 000371BF D3AD8C08 8422117C
	ds_read_b128 v[48:51], v202 offset:8512                    // 000000003B18: D9FE2140 300000CA
	v_mfma_scale_f32_16x16x128_f8f6f4 a[12:15], v[124:127], v[12:15], a[12:15], v191, v184 op_sel_hi:[0,0,0] cbsz:4 blgp:4// 000000003B20: D3AC1800 000371BF D3AD8C0C 8432197C
	v_mfma_scale_f32_16x16x128_f8f6f4 a[0:3], v[128:131], v[16:19], a[0:3], v191, v184 op_sel_hi:[0,0,0] cbsz:4 blgp:4// 000000003B30: D3AC6000 180371BF D3AD8C00 84022180
	ds_read_b128 v[44:47], v202 offset:8960                    // 000000003B40: D9FE2300 2C0000CA
	v_mfma_scale_f32_16x16x128_f8f6f4 a[4:7], v[128:131], v[20:23], a[4:7], v191, v184 op_sel_hi:[0,0,0] cbsz:4 blgp:4// 000000003B48: D3AC7000 180371BF D3AD8C04 84122980
	buffer_load_dwordx4 v[172:175], v210, s[16:19], 0 offen    // 000000003B58: E05C1000 8004ACD2
	v_mfma_scale_f32_16x16x128_f8f6f4 a[8:11], v[132:135], v[16:19], a[8:11], v191, v184 op_sel_hi:[0,0,0] cbsz:4 blgp:4// 000000003B60: D3AC6800 180371BF D3AD8C08 84222184
	ds_read_b128 v[52:55], v202 offset:9024                    // 000000003B70: D9FE2340 340000CA
	v_mfma_scale_f32_16x16x128_f8f6f4 a[12:15], v[132:135], v[20:23], a[12:15], v191, v184 op_sel_hi:[0,0,0] cbsz:4 blgp:4// 000000003B78: D3AC7800 180371BF D3AD8C0C 84322984
	ds_read_b32 v186, v206 offset:512                          // 000000003B88: D86C0200 BA0000CE
	s_waitcnt lgkmcnt(5)                                       // 000000003B90: BF8CC57F
	v_mfma_scale_f32_16x16x128_f8f6f4 a[32:35], v[120:123], v[24:27], a[32:35], v191, v185 op_sel_hi:[0,0,0] cbsz:4 blgp:4// 000000003B94: D3AC6000 000373BF D3AD8C20 84823178
	ds_read_b128 v[56:59], v202 offset:12672                   // 000000003BA4: D9FE3180 380000CA
	v_mfma_scale_f32_16x16x128_f8f6f4 a[36:39], v[120:123], v[28:31], a[36:39], v191, v185 op_sel_hi:[0,0,0] cbsz:4 blgp:4// 000000003BAC: D3AC7000 000373BF D3AD8C24 84923978
	buffer_load_dwordx4 v[176:179], v209, s[16:19], 0 offen offset:1024// 000000003BBC: E05C1400 8004B0D1
	v_mfma_scale_f32_16x16x128_f8f6f4 a[40:43], v[124:127], v[24:27], a[40:43], v191, v185 op_sel_hi:[0,0,0] cbsz:4 blgp:4// 000000003BC4: D3AC6800 000373BF D3AD8C28 84A2317C
	ds_read_b128 v[64:67], v202 offset:12736                   // 000000003BD4: D9FE31C0 400000CA
	v_mfma_scale_f32_16x16x128_f8f6f4 a[44:47], v[124:127], v[28:31], a[44:47], v191, v185 op_sel_hi:[0,0,0] cbsz:4 blgp:4// 000000003BDC: D3AC7800 000373BF D3AD8C2C 84B2397C
	v_mfma_scale_f32_16x16x128_f8f6f4 a[32:35], v[128:131], v[32:35], a[32:35], v191, v185 op_sel_hi:[0,0,0] cbsz:4 blgp:4// 000000003BEC: D3AC6000 180373BF D3AD8C20 84824180
	ds_read_b128 v[60:63], v202 offset:13184                   // 000000003BFC: D9FE3380 3C0000CA
	v_mfma_scale_f32_16x16x128_f8f6f4 a[36:39], v[128:131], v[36:39], a[36:39], v191, v185 op_sel_hi:[0,0,0] cbsz:4 blgp:4// 000000003C04: D3AC7000 180373BF D3AD8C24 84924980
	buffer_load_dwordx4 v[180:183], v210, s[16:19], 0 offen offset:1024// 000000003C14: E05C1400 8004B4D2
	v_mfma_scale_f32_16x16x128_f8f6f4 a[40:43], v[132:135], v[32:35], a[40:43], v191, v185 op_sel_hi:[0,0,0] cbsz:4 blgp:4// 000000003C1C: D3AC6800 180373BF D3AD8C28 84A24184
	ds_read_b128 v[68:71], v202 offset:13248                   // 000000003C2C: D9FE33C0 440000CA
	v_mfma_scale_f32_16x16x128_f8f6f4 a[44:47], v[132:135], v[36:39], a[44:47], v191, v185 op_sel_hi:[0,0,0] cbsz:4 blgp:4// 000000003C34: D3AC7800 180373BF D3AD8C2C 84B24984
	ds_read_b32 v187, v206 offset:768                          // 000000003C44: D86C0300 BB0000CE
	s_waitcnt lgkmcnt(5)                                       // 000000003C4C: BF8CC57F
	v_mfma_scale_f32_16x16x128_f8f6f4 a[64:67], v[120:123], v[40:43], a[64:67], v191, v186 op_sel_hi:[0,0,0] cbsz:4 blgp:4// 000000003C50: D3AC6000 000375BF D3AD8C40 85025178
	ds_read_b128 v[72:75], v202 offset:16896                   // 000000003C60: D9FE4200 480000CA
	v_mfma_scale_f32_16x16x128_f8f6f4 a[68:71], v[120:123], v[44:47], a[68:71], v191, v186 op_sel_hi:[0,0,0] cbsz:4 blgp:4// 000000003C68: D3AC7000 000375BF D3AD8C44 85125978
	buffer_load_dword v194, v212, s[24:27], 0 offen            // 000000003C78: E0501000 8006C2D4
	v_mfma_scale_f32_16x16x128_f8f6f4 a[72:75], v[124:127], v[40:43], a[72:75], v191, v186 op_sel_hi:[0,0,0] cbsz:4 blgp:4// 000000003C80: D3AC6800 000375BF D3AD8C48 8522517C
	s_add_u32 s63, 0x200, s60                                  // 000000003C90: 803F3CFF 00000200
	ds_read_b128 v[80:83], v202 offset:16960                   // 000000003C98: D9FE4240 500000CA
	v_mfma_scale_f32_16x16x128_f8f6f4 a[76:79], v[124:127], v[44:47], a[76:79], v191, v186 op_sel_hi:[0,0,0] cbsz:4 blgp:4// 000000003CA0: D3AC7800 000375BF D3AD8C4C 8532597C
	s_cmp_lt_u32 s63, s61                                      // 000000003CB0: BF0A3D3F
	v_mfma_scale_f32_16x16x128_f8f6f4 a[64:67], v[128:131], v[48:51], a[64:67], v191, v186 op_sel_hi:[0,0,0] cbsz:4 blgp:4// 000000003CB4: D3AC6000 180375BF D3AD8C40 85026180
	s_cselect_b32 s67, s67, 0                                  // 000000003CC4: 85438043
	ds_read_b128 v[76:79], v202 offset:17408                   // 000000003CC8: D9FE4400 4C0000CA
	v_mfma_scale_f32_16x16x128_f8f6f4 a[68:71], v[128:131], v[52:55], a[68:71], v191, v186 op_sel_hi:[0,0,0] cbsz:4 blgp:4// 000000003CD0: D3AC3000 180375BF D3AD8C44 85126980
	s_cselect_b32 s69, s69, 0                                  // 000000003CE0: 85458045
	v_mfma_scale_f32_16x16x128_f8f6f4 a[72:75], v[132:135], v[48:51], a[72:75], v191, v186 op_sel_hi:[0,0,0] cbsz:4 blgp:4// 000000003CE4: D3AC6800 180375BF D3AD8C48 85226184
	s_add_u32 s16, s16, s67                                    // 000000003CF4: 80104310
	ds_read_b128 v[84:87], v202 offset:17472                   // 000000003CF8: D9FE4440 540000CA
	v_mfma_scale_f32_16x16x128_f8f6f4 a[76:79], v[132:135], v[52:55], a[76:79], v191, v186 op_sel_hi:[0,0,0] cbsz:4 blgp:4// 000000003D00: D3AC7800 180375BF D3AD8C4C 85326984
	s_addc_u32 s17, 0, s17                                     // 000000003D10: 82111180
	s_sub_u32 s18, s18, s67                                    // 000000003D14: 80924312
	ds_read_b32 v188, v206 offset:1024                         // 000000003D18: D86C0400 BC0000CE
	s_waitcnt lgkmcnt(5)                                       // 000000003D20: BF8CC57F
	v_mfma_scale_f32_16x16x128_f8f6f4 a[96:99], v[120:123], v[56:59], a[96:99], v191, v187 op_sel_hi:[0,0,0] cbsz:4 blgp:4// 000000003D24: D3AC6000 000377BF D3AD8C60 85827178
	s_add_u32 s24, s24, s69                                    // 000000003D34: 80184518
	ds_read_b128 v[88:91], v202 offset:21120                   // 000000003D38: D9FE5280 580000CA
	v_mfma_scale_f32_16x16x128_f8f6f4 a[100:103], v[120:123], v[60:63], a[100:103], v191, v187 op_sel_hi:[0,0,0] cbsz:4 blgp:4// 000000003D40: D3AC7000 000377BF D3AD8C64 85927978
	s_addc_u32 s25, 0, s25                                     // 000000003D50: 82191980
	v_mfma_scale_f32_16x16x128_f8f6f4 a[104:107], v[124:127], v[56:59], a[104:107], v191, v187 op_sel_hi:[0,0,0] cbsz:4 blgp:4// 000000003D54: D3AC6800 000377BF D3AD8C68 85A2717C
	s_sub_u32 s26, s26, s69                                    // 000000003D64: 809A451A
	ds_read_b128 v[96:99], v202 offset:21184                   // 000000003D68: D9FE52C0 600000CA
	v_mfma_scale_f32_16x16x128_f8f6f4 a[108:111], v[124:127], v[60:63], a[108:111], v191, v187 op_sel_hi:[0,0,0] cbsz:4 blgp:4// 000000003D70: D3AC7800 000377BF D3AD8C6C 85B2797C
	v_mfma_scale_f32_16x16x128_f8f6f4 a[96:99], v[128:131], v[64:67], a[96:99], v191, v187 op_sel_hi:[0,0,0] cbsz:4 blgp:4// 000000003D80: D3AC6000 180377BF D3AD8C60 85828180
	ds_read_b128 v[92:95], v202 offset:21632                   // 000000003D90: D9FE5480 5C0000CA
	v_mfma_scale_f32_16x16x128_f8f6f4 a[100:103], v[128:131], v[68:71], a[100:103], v191, v187 op_sel_hi:[0,0,0] cbsz:4 blgp:4// 000000003D98: D3AC7000 180377BF D3AD8C64 85928980
	v_mfma_scale_f32_16x16x128_f8f6f4 a[104:107], v[132:135], v[64:67], a[104:107], v191, v187 op_sel_hi:[0,0,0] cbsz:4 blgp:4// 000000003DA8: D3AC6800 180377BF D3AD8C68 85A28184
	ds_read_b128 v[100:103], v202 offset:21696                 // 000000003DB8: D9FE54C0 640000CA
	v_mfma_scale_f32_16x16x128_f8f6f4 a[108:111], v[132:135], v[68:71], a[108:111], v191, v187 op_sel_hi:[0,0,0] cbsz:4 blgp:4// 000000003DC0: D3AC7800 180377BF D3AD8C6C 85B28984
	ds_read_b32 v189, v206 offset:1280                         // 000000003DD0: D86C0500 BD0000CE
	s_waitcnt lgkmcnt(5)                                       // 000000003DD8: BF8CC57F
	v_mfma_scale_f32_16x16x128_f8f6f4 a[128:131], v[120:123], v[72:75], a[128:131], v191, v188 op_sel_hi:[0,0,0] cbsz:4 blgp:4// 000000003DDC: D3AC6000 000379BF D3AD8C80 86029178
	ds_read_b128 v[104:107], v202 offset:25344                 // 000000003DEC: D9FE6300 680000CA
	v_mfma_scale_f32_16x16x128_f8f6f4 a[132:135], v[120:123], v[76:79], a[132:135], v191, v188 op_sel_hi:[0,0,0] cbsz:4 blgp:4// 000000003DF4: D3AC7000 000379BF D3AD8C84 86129978
	v_mfma_scale_f32_16x16x128_f8f6f4 a[136:139], v[124:127], v[72:75], a[136:139], v191, v188 op_sel_hi:[0,0,0] cbsz:4 blgp:4// 000000003E04: D3AC6800 000379BF D3AD8C88 8622917C
	ds_read_b128 v[112:115], v202 offset:25408                 // 000000003E14: D9FE6340 700000CA
	v_mfma_scale_f32_16x16x128_f8f6f4 a[140:143], v[124:127], v[76:79], a[140:143], v191, v188 op_sel_hi:[0,0,0] cbsz:4 blgp:4// 000000003E1C: D3AC7800 000379BF D3AD8C8C 8632997C
	v_mfma_scale_f32_16x16x128_f8f6f4 a[128:131], v[128:131], v[80:83], a[128:131], v191, v188 op_sel_hi:[0,0,0] cbsz:4 blgp:4// 000000003E2C: D3AC6000 180379BF D3AD8C80 8602A180
	ds_read_b128 v[108:111], v202 offset:25856                 // 000000003E3C: D9FE6500 6C0000CA
	v_mfma_scale_f32_16x16x128_f8f6f4 a[132:135], v[128:131], v[84:87], a[132:135], v191, v188 op_sel_hi:[0,0,0] cbsz:4 blgp:4// 000000003E44: D3AC7000 180379BF D3AD8C84 8612A980
	v_mfma_scale_f32_16x16x128_f8f6f4 a[136:139], v[132:135], v[80:83], a[136:139], v191, v188 op_sel_hi:[0,0,0] cbsz:4 blgp:4// 000000003E54: D3AC6800 180379BF D3AD8C88 8622A184
	ds_read_b128 v[116:119], v202 offset:25920                 // 000000003E64: D9FE6540 740000CA
	v_mfma_scale_f32_16x16x128_f8f6f4 a[140:143], v[132:135], v[84:87], a[140:143], v191, v188 op_sel_hi:[0,0,0] cbsz:4 blgp:4// 000000003E6C: D3AC7800 180379BF D3AD8C8C 8632A984
	ds_read_b32 v190, v206 offset:1536                         // 000000003E7C: D86C0600 BE0000CE
	s_barrier                                                  // 000000003E84: BF8A0000
	s_waitcnt lgkmcnt(5)                                       // 000000003E88: BF8CC57F
	v_mfma_scale_f32_16x16x128_f8f6f4 a[160:163], v[120:123], v[88:91], a[160:163], v191, v189 op_sel_hi:[0,0,0] cbsz:4 blgp:4// 000000003E8C: D3AC6000 00037BBF D3AD8CA0 8682B178
	v_mfma_scale_f32_16x16x128_f8f6f4 a[164:167], v[120:123], v[92:95], a[164:167], v191, v189 op_sel_hi:[0,0,0] cbsz:4 blgp:4// 000000003E9C: D3AC7000 00037BBF D3AD8CA4 8692B978
	s_add_u32 m0, 0, s65                                       // 000000003EAC: 807C4180
	buffer_load_dword v204, s[20:23], 0 offen lds              // 000000003EB0: E0511000 800500CC
	v_mfma_scale_f32_16x16x128_f8f6f4 a[168:171], v[124:127], v[88:91], a[168:171], v191, v189 op_sel_hi:[0,0,0] cbsz:4 blgp:4// 000000003EB8: D3AC6800 00037BBF D3AD8CA8 86A2B17C
	v_mfma_scale_f32_16x16x128_f8f6f4 a[172:175], v[124:127], v[92:95], a[172:175], v191, v189 op_sel_hi:[0,0,0] cbsz:4 blgp:4// 000000003EC8: D3AC7800 00037BBF D3AD8CAC 86B2B97C
	v_mfma_scale_f32_16x16x128_f8f6f4 a[160:163], v[128:131], v[96:99], a[160:163], v191, v189 op_sel_hi:[0,0,0] cbsz:4 blgp:4// 000000003ED8: D3AC6000 18037BBF D3AD8CA0 8682C180
	v_mfma_scale_f32_16x16x128_f8f6f4 a[164:167], v[128:131], v[100:103], a[164:167], v191, v189 op_sel_hi:[0,0,0] cbsz:4 blgp:4// 000000003EE8: D3AC7000 18037BBF D3AD8CA4 8692C980
	s_add_u32 m0, 0x400, s65                                   // 000000003EF8: 807C41FF 00000400
	buffer_load_dword v205, s[20:23], 0 offen lds              // 000000003F00: E0511000 800500CD
	v_mfma_scale_f32_16x16x128_f8f6f4 a[168:171], v[132:135], v[96:99], a[168:171], v191, v189 op_sel_hi:[0,0,0] cbsz:4 blgp:4// 000000003F08: D3AC6800 18037BBF D3AD8CA8 86A2C184
	v_mfma_scale_f32_16x16x128_f8f6f4 a[172:175], v[132:135], v[100:103], a[172:175], v191, v189 op_sel_hi:[0,0,0] cbsz:4 blgp:4// 000000003F18: D3AC7800 18037BBF D3AD8CAC 86B2C984
	s_waitcnt lgkmcnt(0)                                       // 000000003F28: BF8CC07F
	v_mfma_scale_f32_16x16x128_f8f6f4 a[192:195], v[120:123], v[104:107], a[192:195], v191, v190 op_sel_hi:[0,0,0] cbsz:4 blgp:4// 000000003F2C: D3AC6000 00037DBF D3AD8CC0 8702D178
	v_mfma_scale_f32_16x16x128_f8f6f4 a[196:199], v[120:123], v[108:111], a[196:199], v191, v190 op_sel_hi:[0,0,0] cbsz:4 blgp:4// 000000003F3C: D3AC7000 00037DBF D3AD8CC4 8712D978
	s_add_u32 m0, 0, s64                                       // 000000003F4C: 807C4080
	buffer_load_dwordx4 v195, s[12:15], 0 offen lds            // 000000003F50: E05D1000 800300C3
	v_mfma_scale_f32_16x16x128_f8f6f4 a[200:203], v[124:127], v[104:107], a[200:203], v191, v190 op_sel_hi:[0,0,0] cbsz:4 blgp:4// 000000003F58: D3AC6800 00037DBF D3AD8CC8 8722D17C
	v_mfma_scale_f32_16x16x128_f8f6f4 a[204:207], v[124:127], v[108:111], a[204:207], v191, v190 op_sel_hi:[0,0,0] cbsz:4 blgp:4// 000000003F68: D3AC7800 00037DBF D3AD8CCC 8732D97C
	v_mfma_scale_f32_16x16x128_f8f6f4 a[192:195], v[128:131], v[112:115], a[192:195], v191, v190 op_sel_hi:[0,0,0] cbsz:4 blgp:4// 000000003F78: D3AC6000 18037DBF D3AD8CC0 8702E180
	v_mfma_scale_f32_16x16x128_f8f6f4 a[196:199], v[128:131], v[116:119], a[196:199], v191, v190 op_sel_hi:[0,0,0] cbsz:4 blgp:4// 000000003F88: D3AC7000 18037DBF D3AD8CC4 8712E980
	s_add_u32 m0, 0x1080, s64                                  // 000000003F98: 807C40FF 00001080
	buffer_load_dwordx4 v196, s[12:15], 0 offen lds            // 000000003FA0: E05D1000 800300C4
	v_mfma_scale_f32_16x16x128_f8f6f4 a[200:203], v[132:135], v[112:115], a[200:203], v191, v190 op_sel_hi:[0,0,0] cbsz:4 blgp:4// 000000003FA8: D3AC6800 18037DBF D3AD8CC8 8722E184
	v_mfma_scale_f32_16x16x128_f8f6f4 a[204:207], v[132:135], v[116:119], a[204:207], v191, v190 op_sel_hi:[0,0,0] cbsz:4 blgp:4// 000000003FB8: D3AC7800 18037DBF D3AD8CCC 8732E984
	s_waitcnt vmcnt(19)                                        // 000000003FC8: BF8C4F73
	s_barrier                                                  // 000000003FCC: BF8A0000
	v_mfma_scale_f32_16x16x128_f8f6f4 a[16:19], v[136:139], v[8:11], a[16:19], v192, v184 op_sel_hi:[0,0,0] cbsz:4 blgp:4// 000000003FD0: D3AC6000 000371C0 D3AD8C10 84421188
	v_mfma_scale_f32_16x16x128_f8f6f4 a[20:23], v[136:139], v[12:15], a[20:23], v192, v184 op_sel_hi:[0,0,0] cbsz:4 blgp:4// 000000003FE0: D3AC5000 000371C0 D3AD8C14 84521988
	s_add_u32 m0, 0x2100, s64                                  // 000000003FF0: 807C40FF 00002100
	buffer_load_dwordx4 v197, s[12:15], 0 offen lds            // 000000003FF8: E05D1000 800300C5
	v_mfma_scale_f32_16x16x128_f8f6f4 a[24:27], v[140:143], v[8:11], a[24:27], v192, v184 op_sel_hi:[0,0,0] cbsz:4 blgp:4// 000000004000: D3AC6800 000371C0 D3AD8C18 8462118C
	v_mfma_scale_f32_16x16x128_f8f6f4 a[28:31], v[140:143], v[12:15], a[28:31], v192, v184 op_sel_hi:[0,0,0] cbsz:4 blgp:4// 000000004010: D3AC5800 000371C0 D3AD8C1C 8472198C
	v_mfma_scale_f32_16x16x128_f8f6f4 a[16:19], v[144:147], v[16:19], a[16:19], v192, v184 op_sel_hi:[0,0,0] cbsz:4 blgp:4// 000000004020: D3AC6000 180371C0 D3AD8C10 84422190
	v_mfma_scale_f32_16x16x128_f8f6f4 a[20:23], v[144:147], v[20:23], a[20:23], v192, v184 op_sel_hi:[0,0,0] cbsz:4 blgp:4// 000000004030: D3AC7000 180371C0 D3AD8C14 84522990
	s_add_u32 m0, 0x3180, s64                                  // 000000004040: 807C40FF 00003180
	buffer_load_dwordx4 v198, s[12:15], 0 offen lds            // 000000004048: E05D1000 800300C6
	v_mfma_scale_f32_16x16x128_f8f6f4 a[24:27], v[148:151], v[16:19], a[24:27], v192, v184 op_sel_hi:[0,0,0] cbsz:4 blgp:4// 000000004050: D3AC6800 180371C0 D3AD8C18 84622194
	v_mfma_scale_f32_16x16x128_f8f6f4 a[28:31], v[148:151], v[20:23], a[28:31], v192, v184 op_sel_hi:[0,0,0] cbsz:4 blgp:4// 000000004060: D3AC5800 180371C0 D3AD8C1C 84722994
	v_mfma_scale_f32_16x16x128_f8f6f4 a[48:51], v[136:139], v[24:27], a[48:51], v192, v185 op_sel_hi:[0,0,0] cbsz:4 blgp:4// 000000004070: D3AC4000 000373C0 D3AD8C30 84C23188
	v_mfma_scale_f32_16x16x128_f8f6f4 a[52:55], v[136:139], v[28:31], a[52:55], v192, v185 op_sel_hi:[0,0,0] cbsz:4 blgp:4// 000000004080: D3AC5000 000373C0 D3AD8C34 84D23988
	s_add_u32 m0, 0x4200, s64                                  // 000000004090: 807C40FF 00004200
	buffer_load_dwordx4 v199, s[12:15], 0 offen lds            // 000000004098: E05D1000 800300C7
	v_mfma_scale_f32_16x16x128_f8f6f4 a[56:59], v[140:143], v[24:27], a[56:59], v192, v185 op_sel_hi:[0,0,0] cbsz:4 blgp:4// 0000000040A0: D3AC6800 000373C0 D3AD8C38 84E2318C
	v_mfma_scale_f32_16x16x128_f8f6f4 a[60:63], v[140:143], v[28:31], a[60:63], v192, v185 op_sel_hi:[0,0,0] cbsz:4 blgp:4// 0000000040B0: D3AC5800 000373C0 D3AD8C3C 84F2398C
	v_mfma_scale_f32_16x16x128_f8f6f4 a[48:51], v[144:147], v[32:35], a[48:51], v192, v185 op_sel_hi:[0,0,0] cbsz:4 blgp:4// 0000000040C0: D3AC4000 180373C0 D3AD8C30 84C24190
	v_mfma_scale_f32_16x16x128_f8f6f4 a[52:55], v[144:147], v[36:39], a[52:55], v192, v185 op_sel_hi:[0,0,0] cbsz:4 blgp:4// 0000000040D0: D3AC5000 180373C0 D3AD8C34 84D24990
	s_add_u32 m0, 0x5280, s64                                  // 0000000040E0: 807C40FF 00005280
	buffer_load_dwordx4 v200, s[12:15], 0 offen lds            // 0000000040E8: E05D1000 800300C8
	v_mfma_scale_f32_16x16x128_f8f6f4 a[56:59], v[148:151], v[32:35], a[56:59], v192, v185 op_sel_hi:[0,0,0] cbsz:4 blgp:4// 0000000040F0: D3AC6800 180373C0 D3AD8C38 84E24194
	v_mfma_scale_f32_16x16x128_f8f6f4 a[60:63], v[148:151], v[36:39], a[60:63], v192, v185 op_sel_hi:[0,0,0] cbsz:4 blgp:4// 000000004100: D3AC5800 180373C0 D3AD8C3C 84F24994
	v_mfma_scale_f32_16x16x128_f8f6f4 a[80:83], v[136:139], v[40:43], a[80:83], v192, v186 op_sel_hi:[0,0,0] cbsz:4 blgp:4// 000000004110: D3AC6000 000375C0 D3AD8C50 85425188
	v_mfma_scale_f32_16x16x128_f8f6f4 a[84:87], v[136:139], v[44:47], a[84:87], v192, v186 op_sel_hi:[0,0,0] cbsz:4 blgp:4// 000000004120: D3AC7000 000375C0 D3AD8C54 85525988
	s_add_u32 m0, 0x6300, s64                                  // 000000004130: 807C40FF 00006300
	buffer_load_dwordx4 v201, s[12:15], 0 offen lds            // 000000004138: E05D1000 800300C9
	v_mfma_scale_f32_16x16x128_f8f6f4 a[88:91], v[140:143], v[40:43], a[88:91], v192, v186 op_sel_hi:[0,0,0] cbsz:4 blgp:4// 000000004140: D3AC6800 000375C0 D3AD8C58 8562518C
	s_add_u32 s62, 0x300, s60                                  // 000000004150: 803E3CFF 00000300
	v_mfma_scale_f32_16x16x128_f8f6f4 a[92:95], v[140:143], v[44:47], a[92:95], v192, v186 op_sel_hi:[0,0,0] cbsz:4 blgp:4// 000000004158: D3AC3800 000375C0 D3AD8C5C 8572598C
	s_cmp_lt_u32 s62, s61                                      // 000000004168: BF0A3D3E
	v_mfma_scale_f32_16x16x128_f8f6f4 a[80:83], v[144:147], v[48:51], a[80:83], v192, v186 op_sel_hi:[0,0,0] cbsz:4 blgp:4// 00000000416C: D3AC6000 180375C0 D3AD8C50 85426190
	s_cselect_b32 s66, s66, 0                                  // 00000000417C: 85428042
	v_mfma_scale_f32_16x16x128_f8f6f4 a[84:87], v[144:147], v[52:55], a[84:87], v192, v186 op_sel_hi:[0,0,0] cbsz:4 blgp:4// 000000004180: D3AC7000 180375C0 D3AD8C54 85526990
	s_cselect_b32 s68, s68, 0                                  // 000000004190: 85448044
	buffer_load_dwordx4 v[120:123], v207, s[16:19], 0 offen    // 000000004194: E05C1000 800478CF
	v_mfma_scale_f32_16x16x128_f8f6f4 a[88:91], v[148:151], v[48:51], a[88:91], v192, v186 op_sel_hi:[0,0,0] cbsz:4 blgp:4// 00000000419C: D3AC6800 180375C0 D3AD8C58 85626194
	s_add_u32 s12, s12, s66                                    // 0000000041AC: 800C420C
	v_mfma_scale_f32_16x16x128_f8f6f4 a[92:95], v[148:151], v[52:55], a[92:95], v192, v186 op_sel_hi:[0,0,0] cbsz:4 blgp:4// 0000000041B0: D3AC7800 180375C0 D3AD8C5C 85726994
	s_addc_u32 s13, 0, s13                                     // 0000000041C0: 820D0D80
	v_mfma_scale_f32_16x16x128_f8f6f4 a[112:115], v[136:139], v[56:59], a[112:115], v192, v187 op_sel_hi:[0,0,0] cbsz:4 blgp:4// 0000000041C4: D3AC4000 000377C0 D3AD8C70 85C27188
	s_sub_u32 s14, s14, s66                                    // 0000000041D4: 808E420E
	v_mfma_scale_f32_16x16x128_f8f6f4 a[116:119], v[136:139], v[60:63], a[116:119], v192, v187 op_sel_hi:[0,0,0] cbsz:4 blgp:4// 0000000041D8: D3AC7000 000377C0 D3AD8C74 85D27988
	s_add_u32 s20, s20, s68                                    // 0000000041E8: 80144414
	buffer_load_dwordx4 v[124:127], v208, s[16:19], 0 offen    // 0000000041EC: E05C1000 80047CD0
	v_mfma_scale_f32_16x16x128_f8f6f4 a[120:123], v[140:143], v[56:59], a[120:123], v192, v187 op_sel_hi:[0,0,0] cbsz:4 blgp:4// 0000000041F4: D3AC6800 000377C0 D3AD8C78 85E2718C
	s_addc_u32 s21, 0, s21                                     // 000000004204: 82151580
	v_mfma_scale_f32_16x16x128_f8f6f4 a[124:127], v[140:143], v[60:63], a[124:127], v192, v187 op_sel_hi:[0,0,0] cbsz:4 blgp:4// 000000004208: D3AC3800 000377C0 D3AD8C7C 85F2798C
	s_sub_u32 s22, s22, s68                                    // 000000004218: 80964416
	v_mfma_scale_f32_16x16x128_f8f6f4 a[112:115], v[144:147], v[64:67], a[112:115], v192, v187 op_sel_hi:[0,0,0] cbsz:4 blgp:4// 00000000421C: D3AC6000 180377C0 D3AD8C70 85C28190
	s_addk_i32 s60, 0x100                                      // 00000000422C: B73C0100
	v_mfma_scale_f32_16x16x128_f8f6f4 a[116:119], v[144:147], v[68:71], a[116:119], v192, v187 op_sel_hi:[0,0,0] cbsz:4 blgp:4// 000000004230: D3AC7000 180377C0 D3AD8C74 85D28990
	s_cmp_lt_i32 s60, s61                                      // 000000004240: BF043D3C
	buffer_load_dwordx4 v[128:131], v207, s[16:19], 0 offen offset:1024// 000000004244: E05C1400 800480CF
	v_mfma_scale_f32_16x16x128_f8f6f4 a[120:123], v[148:151], v[64:67], a[120:123], v192, v187 op_sel_hi:[0,0,0] cbsz:4 blgp:4// 00000000424C: D3AC6800 180377C0 D3AD8C78 85E28194
	v_mfma_scale_f32_16x16x128_f8f6f4 a[124:127], v[148:151], v[68:71], a[124:127], v192, v187 op_sel_hi:[0,0,0] cbsz:4 blgp:4// 00000000425C: D3AC7800 180377C0 D3AD8C7C 85F28994
	v_mfma_scale_f32_16x16x128_f8f6f4 a[144:147], v[136:139], v[72:75], a[144:147], v192, v188 op_sel_hi:[0,0,0] cbsz:4 blgp:4// 00000000426C: D3AC6000 000379C0 D3AD8C90 86429188
	v_mfma_scale_f32_16x16x128_f8f6f4 a[148:151], v[136:139], v[76:79], a[148:151], v192, v188 op_sel_hi:[0,0,0] cbsz:4 blgp:4// 00000000427C: D3AC7000 000379C0 D3AD8C94 86529988
	buffer_load_dwordx4 v[132:135], v208, s[16:19], 0 offen offset:1024// 00000000428C: E05C1400 800484D0
	v_mfma_scale_f32_16x16x128_f8f6f4 a[152:155], v[140:143], v[72:75], a[152:155], v192, v188 op_sel_hi:[0,0,0] cbsz:4 blgp:4// 000000004294: D3AC6800 000379C0 D3AD8C98 8662918C
	v_mfma_scale_f32_16x16x128_f8f6f4 a[156:159], v[140:143], v[76:79], a[156:159], v192, v188 op_sel_hi:[0,0,0] cbsz:4 blgp:4// 0000000042A4: D3AC7800 000379C0 D3AD8C9C 8672998C
	v_mfma_scale_f32_16x16x128_f8f6f4 a[144:147], v[144:147], v[80:83], a[144:147], v192, v188 op_sel_hi:[0,0,0] cbsz:4 blgp:4// 0000000042B4: D3AC6000 180379C0 D3AD8C90 8642A190
	v_mfma_scale_f32_16x16x128_f8f6f4 a[148:151], v[144:147], v[84:87], a[148:151], v192, v188 op_sel_hi:[0,0,0] cbsz:4 blgp:4// 0000000042C4: D3AC7000 180379C0 D3AD8C94 8652A990
	buffer_load_dword v191, v211, s[24:27], 0 offen            // 0000000042D4: E0501000 8006BFD3
	v_mfma_scale_f32_16x16x128_f8f6f4 a[152:155], v[148:151], v[80:83], a[152:155], v192, v188 op_sel_hi:[0,0,0] cbsz:4 blgp:4// 0000000042DC: D3AC6800 180379C0 D3AD8C98 8662A194
	v_mfma_scale_f32_16x16x128_f8f6f4 a[156:159], v[148:151], v[84:87], a[156:159], v192, v188 op_sel_hi:[0,0,0] cbsz:4 blgp:4// 0000000042EC: D3AC7800 180379C0 D3AD8C9C 8672A994
	v_mfma_scale_f32_16x16x128_f8f6f4 a[176:179], v[136:139], v[88:91], a[176:179], v192, v189 op_sel_hi:[0,0,0] cbsz:4 blgp:4// 0000000042FC: D3AC6000 00037BC0 D3AD8CB0 86C2B188
	ds_read_b128 v[8:11], v203                                 // 00000000430C: D9FE0000 080000CB
	v_mfma_scale_f32_16x16x128_f8f6f4 a[180:183], v[136:139], v[92:95], a[180:183], v192, v189 op_sel_hi:[0,0,0] cbsz:4 blgp:4// 000000004314: D3AC7000 00037BC0 D3AD8CB4 86D2B988
	v_mfma_scale_f32_16x16x128_f8f6f4 a[184:187], v[140:143], v[88:91], a[184:187], v192, v189 op_sel_hi:[0,0,0] cbsz:4 blgp:4// 000000004324: D3AC6800 00037BC0 D3AD8CB8 86E2B18C
	ds_read_b128 v[16:19], v203 offset:64                      // 000000004334: D9FE0040 100000CB
	v_mfma_scale_f32_16x16x128_f8f6f4 a[188:191], v[140:143], v[92:95], a[188:191], v192, v189 op_sel_hi:[0,0,0] cbsz:4 blgp:4// 00000000433C: D3AC7800 00037BC0 D3AD8CBC 86F2B98C
	v_mfma_scale_f32_16x16x128_f8f6f4 a[176:179], v[144:147], v[96:99], a[176:179], v192, v189 op_sel_hi:[0,0,0] cbsz:4 blgp:4// 00000000434C: D3AC6000 18037BC0 D3AD8CB0 86C2C190
	ds_read_b128 v[12:15], v203 offset:512                     // 00000000435C: D9FE0200 0C0000CB
	v_mfma_scale_f32_16x16x128_f8f6f4 a[180:183], v[144:147], v[100:103], a[180:183], v192, v189 op_sel_hi:[0,0,0] cbsz:4 blgp:4// 000000004364: D3AC7000 18037BC0 D3AD8CB4 86D2C990
	v_mfma_scale_f32_16x16x128_f8f6f4 a[184:187], v[148:151], v[96:99], a[184:187], v192, v189 op_sel_hi:[0,0,0] cbsz:4 blgp:4// 000000004374: D3AC6800 18037BC0 D3AD8CB8 86E2C194
	ds_read_b128 v[20:23], v203 offset:576                     // 000000004384: D9FE0240 140000CB
	v_mfma_scale_f32_16x16x128_f8f6f4 a[188:191], v[148:151], v[100:103], a[188:191], v192, v189 op_sel_hi:[0,0,0] cbsz:4 blgp:4// 00000000438C: D3AC7800 18037BC0 D3AD8CBC 86F2C994
	ds_read_b32 v184, v206 offset:2048                         // 00000000439C: D86C0800 B80000CE
	v_mfma_scale_f32_16x16x128_f8f6f4 a[208:211], v[136:139], v[104:107], a[208:211], v192, v190 op_sel_hi:[0,0,0] cbsz:4 blgp:4// 0000000043A4: D3AC6000 00037DC0 D3AD8CD0 8742D188
	ds_read_b128 v[24:27], v203 offset:4224                    // 0000000043B4: D9FE1080 180000CB
	v_mfma_scale_f32_16x16x128_f8f6f4 a[212:215], v[136:139], v[108:111], a[212:215], v192, v190 op_sel_hi:[0,0,0] cbsz:4 blgp:4// 0000000043BC: D3AC7000 00037DC0 D3AD8CD4 8752D988
	v_mfma_scale_f32_16x16x128_f8f6f4 a[216:219], v[140:143], v[104:107], a[216:219], v192, v190 op_sel_hi:[0,0,0] cbsz:4 blgp:4// 0000000043CC: D3AC6800 00037DC0 D3AD8CD8 8762D18C
	ds_read_b128 v[32:35], v203 offset:4288                    // 0000000043DC: D9FE10C0 200000CB
	v_mfma_scale_f32_16x16x128_f8f6f4 a[220:223], v[140:143], v[108:111], a[220:223], v192, v190 op_sel_hi:[0,0,0] cbsz:4 blgp:4// 0000000043E4: D3AC7800 00037DC0 D3AD8CDC 8772D98C
	v_mfma_scale_f32_16x16x128_f8f6f4 a[208:211], v[144:147], v[112:115], a[208:211], v192, v190 op_sel_hi:[0,0,0] cbsz:4 blgp:4// 0000000043F4: D3AC6000 18037DC0 D3AD8CD0 8742E190
	ds_read_b128 v[28:31], v203 offset:4736                    // 000000004404: D9FE1280 1C0000CB
	v_mfma_scale_f32_16x16x128_f8f6f4 a[212:215], v[144:147], v[116:119], a[212:215], v192, v190 op_sel_hi:[0,0,0] cbsz:4 blgp:4// 00000000440C: D3AC7000 18037DC0 D3AD8CD4 8752E990
	v_mfma_scale_f32_16x16x128_f8f6f4 a[216:219], v[148:151], v[112:115], a[216:219], v192, v190 op_sel_hi:[0,0,0] cbsz:4 blgp:4// 00000000441C: D3AC6800 18037DC0 D3AD8CD8 8762E194
	ds_read_b128 v[36:39], v203 offset:4800                    // 00000000442C: D9FE12C0 240000CB
	v_mfma_scale_f32_16x16x128_f8f6f4 a[220:223], v[148:151], v[116:119], a[220:223], v192, v190 op_sel_hi:[0,0,0] cbsz:4 blgp:4// 000000004434: D3AC7800 18037DC0 D3AD8CDC 8772E994
	ds_read_b32 v185, v206 offset:2304                         // 000000004444: D86C0900 B90000CE
	s_cbranch_scc0 label_0D3D                                  // 00000000444C: BF840729
	s_waitcnt vmcnt(19)                                        // 000000004450: BF8C4F73
	s_barrier                                                  // 000000004454: BF8A0000
	s_waitcnt lgkmcnt(5)                                       // 000000004458: BF8CC57F
	v_mfma_scale_f32_16x16x128_f8f6f4 a[0:3], v[152:155], v[8:11], a[0:3], v193, v184 op_sel_hi:[0,0,0] cbsz:4 blgp:4// 00000000445C: D3AC6000 000371C1 D3AD8C00 84021198
	ds_read_b128 v[40:43], v203 offset:8448                    // 00000000446C: D9FE2100 280000CB
	v_mfma_scale_f32_16x16x128_f8f6f4 a[4:7], v[152:155], v[12:15], a[4:7], v193, v184 op_sel_hi:[0,0,0] cbsz:4 blgp:4// 000000004474: D3AC7000 000371C1 D3AD8C04 84121998
	buffer_load_dwordx4 v[136:139], v209, s[16:19], 0 offen    // 000000004484: E05C1000 800488D1
	v_mfma_scale_f32_16x16x128_f8f6f4 a[8:11], v[156:159], v[8:11], a[8:11], v193, v184 op_sel_hi:[0,0,0] cbsz:4 blgp:4// 00000000448C: D3AC6800 000371C1 D3AD8C08 8422119C
	ds_read_b128 v[48:51], v203 offset:8512                    // 00000000449C: D9FE2140 300000CB
	v_mfma_scale_f32_16x16x128_f8f6f4 a[12:15], v[156:159], v[12:15], a[12:15], v193, v184 op_sel_hi:[0,0,0] cbsz:4 blgp:4// 0000000044A4: D3AC7800 000371C1 D3AD8C0C 8432199C
	v_mfma_scale_f32_16x16x128_f8f6f4 a[0:3], v[160:163], v[16:19], a[0:3], v193, v184 op_sel_hi:[0,0,0] cbsz:4 blgp:4// 0000000044B4: D3AC6000 180371C1 D3AD8C00 840221A0
	ds_read_b128 v[44:47], v203 offset:8960                    // 0000000044C4: D9FE2300 2C0000CB
	v_mfma_scale_f32_16x16x128_f8f6f4 a[4:7], v[160:163], v[20:23], a[4:7], v193, v184 op_sel_hi:[0,0,0] cbsz:4 blgp:4// 0000000044CC: D3AC7000 180371C1 D3AD8C04 841229A0
	buffer_load_dwordx4 v[140:143], v210, s[16:19], 0 offen    // 0000000044DC: E05C1000 80048CD2
	v_mfma_scale_f32_16x16x128_f8f6f4 a[8:11], v[164:167], v[16:19], a[8:11], v193, v184 op_sel_hi:[0,0,0] cbsz:4 blgp:4// 0000000044E4: D3AC6800 180371C1 D3AD8C08 842221A4
	ds_read_b128 v[52:55], v203 offset:9024                    // 0000000044F4: D9FE2340 340000CB
	v_mfma_scale_f32_16x16x128_f8f6f4 a[12:15], v[164:167], v[20:23], a[12:15], v193, v184 op_sel_hi:[0,0,0] cbsz:4 blgp:4// 0000000044FC: D3AC7800 180371C1 D3AD8C0C 843229A4
	ds_read_b32 v186, v206 offset:2560                         // 00000000450C: D86C0A00 BA0000CE
	s_waitcnt lgkmcnt(5)                                       // 000000004514: BF8CC57F
	v_mfma_scale_f32_16x16x128_f8f6f4 a[32:35], v[152:155], v[24:27], a[32:35], v193, v185 op_sel_hi:[0,0,0] cbsz:4 blgp:4// 000000004518: D3AC6000 000373C1 D3AD8C20 84823198
	ds_read_b128 v[56:59], v203 offset:12672                   // 000000004528: D9FE3180 380000CB
	v_mfma_scale_f32_16x16x128_f8f6f4 a[36:39], v[152:155], v[28:31], a[36:39], v193, v185 op_sel_hi:[0,0,0] cbsz:4 blgp:4// 000000004530: D3AC7000 000373C1 D3AD8C24 84923998
	buffer_load_dwordx4 v[144:147], v209, s[16:19], 0 offen offset:1024// 000000004540: E05C1400 800490D1
	v_mfma_scale_f32_16x16x128_f8f6f4 a[40:43], v[156:159], v[24:27], a[40:43], v193, v185 op_sel_hi:[0,0,0] cbsz:4 blgp:4// 000000004548: D3AC6800 000373C1 D3AD8C28 84A2319C
	ds_read_b128 v[64:67], v203 offset:12736                   // 000000004558: D9FE31C0 400000CB
	v_mfma_scale_f32_16x16x128_f8f6f4 a[44:47], v[156:159], v[28:31], a[44:47], v193, v185 op_sel_hi:[0,0,0] cbsz:4 blgp:4// 000000004560: D3AC7800 000373C1 D3AD8C2C 84B2399C
	v_mfma_scale_f32_16x16x128_f8f6f4 a[32:35], v[160:163], v[32:35], a[32:35], v193, v185 op_sel_hi:[0,0,0] cbsz:4 blgp:4// 000000004570: D3AC6000 180373C1 D3AD8C20 848241A0
	ds_read_b128 v[60:63], v203 offset:13184                   // 000000004580: D9FE3380 3C0000CB
	v_mfma_scale_f32_16x16x128_f8f6f4 a[36:39], v[160:163], v[36:39], a[36:39], v193, v185 op_sel_hi:[0,0,0] cbsz:4 blgp:4// 000000004588: D3AC7000 180373C1 D3AD8C24 849249A0
	buffer_load_dwordx4 v[148:151], v210, s[16:19], 0 offen offset:1024// 000000004598: E05C1400 800494D2
	v_mfma_scale_f32_16x16x128_f8f6f4 a[40:43], v[164:167], v[32:35], a[40:43], v193, v185 op_sel_hi:[0,0,0] cbsz:4 blgp:4// 0000000045A0: D3AC6800 180373C1 D3AD8C28 84A241A4
	ds_read_b128 v[68:71], v203 offset:13248                   // 0000000045B0: D9FE33C0 440000CB
	v_mfma_scale_f32_16x16x128_f8f6f4 a[44:47], v[164:167], v[36:39], a[44:47], v193, v185 op_sel_hi:[0,0,0] cbsz:4 blgp:4// 0000000045B8: D3AC7800 180373C1 D3AD8C2C 84B249A4
	ds_read_b32 v187, v206 offset:2816                         // 0000000045C8: D86C0B00 BB0000CE
	s_waitcnt lgkmcnt(5)                                       // 0000000045D0: BF8CC57F
	v_mfma_scale_f32_16x16x128_f8f6f4 a[64:67], v[152:155], v[40:43], a[64:67], v193, v186 op_sel_hi:[0,0,0] cbsz:4 blgp:4// 0000000045D4: D3AC6000 000375C1 D3AD8C40 85025198
	ds_read_b128 v[72:75], v203 offset:16896                   // 0000000045E4: D9FE4200 480000CB
	v_mfma_scale_f32_16x16x128_f8f6f4 a[68:71], v[152:155], v[44:47], a[68:71], v193, v186 op_sel_hi:[0,0,0] cbsz:4 blgp:4// 0000000045EC: D3AC7000 000375C1 D3AD8C44 85125998
	buffer_load_dword v192, v212, s[24:27], 0 offen            // 0000000045FC: E0501000 8006C0D4
	v_mfma_scale_f32_16x16x128_f8f6f4 a[72:75], v[156:159], v[40:43], a[72:75], v193, v186 op_sel_hi:[0,0,0] cbsz:4 blgp:4// 000000004604: D3AC6800 000375C1 D3AD8C48 8522519C
	s_add_u32 s63, 0x200, s60                                  // 000000004614: 803F3CFF 00000200
	ds_read_b128 v[80:83], v203 offset:16960                   // 00000000461C: D9FE4240 500000CB
	v_mfma_scale_f32_16x16x128_f8f6f4 a[76:79], v[156:159], v[44:47], a[76:79], v193, v186 op_sel_hi:[0,0,0] cbsz:4 blgp:4// 000000004624: D3AC7800 000375C1 D3AD8C4C 8532599C
	s_cmp_lt_u32 s63, s61                                      // 000000004634: BF0A3D3F
	v_mfma_scale_f32_16x16x128_f8f6f4 a[64:67], v[160:163], v[48:51], a[64:67], v193, v186 op_sel_hi:[0,0,0] cbsz:4 blgp:4// 000000004638: D3AC6000 180375C1 D3AD8C40 850261A0
	s_cselect_b32 s67, s67, 0                                  // 000000004648: 85438043
	ds_read_b128 v[76:79], v203 offset:17408                   // 00000000464C: D9FE4400 4C0000CB
	v_mfma_scale_f32_16x16x128_f8f6f4 a[68:71], v[160:163], v[52:55], a[68:71], v193, v186 op_sel_hi:[0,0,0] cbsz:4 blgp:4// 000000004654: D3AC7000 180375C1 D3AD8C44 851269A0
	s_cselect_b32 s69, s69, 0                                  // 000000004664: 85458045
	v_mfma_scale_f32_16x16x128_f8f6f4 a[72:75], v[164:167], v[48:51], a[72:75], v193, v186 op_sel_hi:[0,0,0] cbsz:4 blgp:4// 000000004668: D3AC6800 180375C1 D3AD8C48 852261A4
	s_add_u32 s16, s16, s67                                    // 000000004678: 80104310
	ds_read_b128 v[84:87], v203 offset:17472                   // 00000000467C: D9FE4440 540000CB
	v_mfma_scale_f32_16x16x128_f8f6f4 a[76:79], v[164:167], v[52:55], a[76:79], v193, v186 op_sel_hi:[0,0,0] cbsz:4 blgp:4// 000000004684: D3AC7800 180375C1 D3AD8C4C 853269A4
	s_addc_u32 s17, 0, s17                                     // 000000004694: 82111180
	s_sub_u32 s18, s18, s67                                    // 000000004698: 80924312
	ds_read_b32 v188, v206 offset:3072                         // 00000000469C: D86C0C00 BC0000CE
	s_waitcnt lgkmcnt(5)                                       // 0000000046A4: BF8CC57F
	v_mfma_scale_f32_16x16x128_f8f6f4 a[96:99], v[152:155], v[56:59], a[96:99], v193, v187 op_sel_hi:[0,0,0] cbsz:4 blgp:4// 0000000046A8: D3AC6000 000377C1 D3AD8C60 85827198
	s_add_u32 s24, s24, s69                                    // 0000000046B8: 80184518
	ds_read_b128 v[88:91], v203 offset:21120                   // 0000000046BC: D9FE5280 580000CB
	v_mfma_scale_f32_16x16x128_f8f6f4 a[100:103], v[152:155], v[60:63], a[100:103], v193, v187 op_sel_hi:[0,0,0] cbsz:4 blgp:4// 0000000046C4: D3AC7000 000377C1 D3AD8C64 85927998
	s_addc_u32 s25, 0, s25                                     // 0000000046D4: 82191980
	v_mfma_scale_f32_16x16x128_f8f6f4 a[104:107], v[156:159], v[56:59], a[104:107], v193, v187 op_sel_hi:[0,0,0] cbsz:4 blgp:4// 0000000046D8: D3AC6800 000377C1 D3AD8C68 85A2719C
	s_sub_u32 s26, s26, s69                                    // 0000000046E8: 809A451A
	ds_read_b128 v[96:99], v203 offset:21184                   // 0000000046EC: D9FE52C0 600000CB
	v_mfma_scale_f32_16x16x128_f8f6f4 a[108:111], v[156:159], v[60:63], a[108:111], v193, v187 op_sel_hi:[0,0,0] cbsz:4 blgp:4// 0000000046F4: D3AC7800 000377C1 D3AD8C6C 85B2799C
	v_mfma_scale_f32_16x16x128_f8f6f4 a[96:99], v[160:163], v[64:67], a[96:99], v193, v187 op_sel_hi:[0,0,0] cbsz:4 blgp:4// 000000004704: D3AC6000 180377C1 D3AD8C60 858281A0
	ds_read_b128 v[92:95], v203 offset:21632                   // 000000004714: D9FE5480 5C0000CB
	v_mfma_scale_f32_16x16x128_f8f6f4 a[100:103], v[160:163], v[68:71], a[100:103], v193, v187 op_sel_hi:[0,0,0] cbsz:4 blgp:4// 00000000471C: D3AC7000 180377C1 D3AD8C64 859289A0
	v_mfma_scale_f32_16x16x128_f8f6f4 a[104:107], v[164:167], v[64:67], a[104:107], v193, v187 op_sel_hi:[0,0,0] cbsz:4 blgp:4// 00000000472C: D3AC6800 180377C1 D3AD8C68 85A281A4
	ds_read_b128 v[100:103], v203 offset:21696                 // 00000000473C: D9FE54C0 640000CB
	v_mfma_scale_f32_16x16x128_f8f6f4 a[108:111], v[164:167], v[68:71], a[108:111], v193, v187 op_sel_hi:[0,0,0] cbsz:4 blgp:4// 000000004744: D3AC7800 180377C1 D3AD8C6C 85B289A4
	ds_read_b32 v189, v206 offset:3328                         // 000000004754: D86C0D00 BD0000CE
	s_waitcnt lgkmcnt(5)                                       // 00000000475C: BF8CC57F
	v_mfma_scale_f32_16x16x128_f8f6f4 a[128:131], v[152:155], v[72:75], a[128:131], v193, v188 op_sel_hi:[0,0,0] cbsz:4 blgp:4// 000000004760: D3AC6000 000379C1 D3AD8C80 86029198
	ds_read_b128 v[104:107], v203 offset:25344                 // 000000004770: D9FE6300 680000CB
	v_mfma_scale_f32_16x16x128_f8f6f4 a[132:135], v[152:155], v[76:79], a[132:135], v193, v188 op_sel_hi:[0,0,0] cbsz:4 blgp:4// 000000004778: D3AC7000 000379C1 D3AD8C84 86129998
	v_mfma_scale_f32_16x16x128_f8f6f4 a[136:139], v[156:159], v[72:75], a[136:139], v193, v188 op_sel_hi:[0,0,0] cbsz:4 blgp:4// 000000004788: D3AC6800 000379C1 D3AD8C88 8622919C
	ds_read_b128 v[112:115], v203 offset:25408                 // 000000004798: D9FE6340 700000CB
	v_mfma_scale_f32_16x16x128_f8f6f4 a[140:143], v[156:159], v[76:79], a[140:143], v193, v188 op_sel_hi:[0,0,0] cbsz:4 blgp:4// 0000000047A0: D3AC7800 000379C1 D3AD8C8C 8632999C
	v_mfma_scale_f32_16x16x128_f8f6f4 a[128:131], v[160:163], v[80:83], a[128:131], v193, v188 op_sel_hi:[0,0,0] cbsz:4 blgp:4// 0000000047B0: D3AC6000 180379C1 D3AD8C80 8602A1A0
	ds_read_b128 v[108:111], v203 offset:25856                 // 0000000047C0: D9FE6500 6C0000CB
	v_mfma_scale_f32_16x16x128_f8f6f4 a[132:135], v[160:163], v[84:87], a[132:135], v193, v188 op_sel_hi:[0,0,0] cbsz:4 blgp:4// 0000000047C8: D3AC7000 180379C1 D3AD8C84 8612A9A0
	v_mfma_scale_f32_16x16x128_f8f6f4 a[136:139], v[164:167], v[80:83], a[136:139], v193, v188 op_sel_hi:[0,0,0] cbsz:4 blgp:4// 0000000047D8: D3AC6800 180379C1 D3AD8C88 8622A1A4
	ds_read_b128 v[116:119], v203 offset:25920                 // 0000000047E8: D9FE6540 740000CB
	v_mfma_scale_f32_16x16x128_f8f6f4 a[140:143], v[164:167], v[84:87], a[140:143], v193, v188 op_sel_hi:[0,0,0] cbsz:4 blgp:4// 0000000047F0: D3AC7800 180379C1 D3AD8C8C 8632A9A4
	ds_read_b32 v190, v206 offset:3584                         // 000000004800: D86C0E00 BE0000CE
	s_barrier                                                  // 000000004808: BF8A0000
	s_waitcnt lgkmcnt(5)                                       // 00000000480C: BF8CC57F
	v_mfma_scale_f32_16x16x128_f8f6f4 a[160:163], v[152:155], v[88:91], a[160:163], v193, v189 op_sel_hi:[0,0,0] cbsz:4 blgp:4// 000000004810: D3AC6000 00037BC1 D3AD8CA0 8682B198
	v_mfma_scale_f32_16x16x128_f8f6f4 a[164:167], v[152:155], v[92:95], a[164:167], v193, v189 op_sel_hi:[0,0,0] cbsz:4 blgp:4// 000000004820: D3AC7000 00037BC1 D3AD8CA4 8692B998
	s_add_u32 m0, 0x800, s65                                   // 000000004830: 807C41FF 00000800
	buffer_load_dword v204, s[20:23], 0 offen lds              // 000000004838: E0511000 800500CC
	v_mfma_scale_f32_16x16x128_f8f6f4 a[168:171], v[156:159], v[88:91], a[168:171], v193, v189 op_sel_hi:[0,0,0] cbsz:4 blgp:4// 000000004840: D3AC6800 00037BC1 D3AD8CA8 86A2B19C
	v_mfma_scale_f32_16x16x128_f8f6f4 a[172:175], v[156:159], v[92:95], a[172:175], v193, v189 op_sel_hi:[0,0,0] cbsz:4 blgp:4// 000000004850: D3AC7800 00037BC1 D3AD8CAC 86B2B99C
	v_mfma_scale_f32_16x16x128_f8f6f4 a[160:163], v[160:163], v[96:99], a[160:163], v193, v189 op_sel_hi:[0,0,0] cbsz:4 blgp:4// 000000004860: D3AC6000 18037BC1 D3AD8CA0 8682C1A0
	v_mfma_scale_f32_16x16x128_f8f6f4 a[164:167], v[160:163], v[100:103], a[164:167], v193, v189 op_sel_hi:[0,0,0] cbsz:4 blgp:4// 000000004870: D3AC7000 18037BC1 D3AD8CA4 8692C9A0
	s_add_u32 m0, 0xc00, s65                                   // 000000004880: 807C41FF 00000C00
	buffer_load_dword v205, s[20:23], 0 offen lds              // 000000004888: E0511000 800500CD
	v_mfma_scale_f32_16x16x128_f8f6f4 a[168:171], v[164:167], v[96:99], a[168:171], v193, v189 op_sel_hi:[0,0,0] cbsz:4 blgp:4// 000000004890: D3AC6800 18037BC1 D3AD8CA8 86A2C1A4
	v_mfma_scale_f32_16x16x128_f8f6f4 a[172:175], v[164:167], v[100:103], a[172:175], v193, v189 op_sel_hi:[0,0,0] cbsz:4 blgp:4// 0000000048A0: D3AC7800 18037BC1 D3AD8CAC 86B2C9A4
	s_waitcnt lgkmcnt(0)                                       // 0000000048B0: BF8CC07F
	v_mfma_scale_f32_16x16x128_f8f6f4 a[192:195], v[152:155], v[104:107], a[192:195], v193, v190 op_sel_hi:[0,0,0] cbsz:4 blgp:4// 0000000048B4: D3AC6000 00037DC1 D3AD8CC0 8702D198
	v_mfma_scale_f32_16x16x128_f8f6f4 a[196:199], v[152:155], v[108:111], a[196:199], v193, v190 op_sel_hi:[0,0,0] cbsz:4 blgp:4// 0000000048C4: D3AC7000 00037DC1 D3AD8CC4 8712D998
	s_add_u32 m0, 0x7380, s64                                  // 0000000048D4: 807C40FF 00007380
	buffer_load_dwordx4 v195, s[12:15], 0 offen lds            // 0000000048DC: E05D1000 800300C3
	v_mfma_scale_f32_16x16x128_f8f6f4 a[200:203], v[156:159], v[104:107], a[200:203], v193, v190 op_sel_hi:[0,0,0] cbsz:4 blgp:4// 0000000048E4: D3AC6800 00037DC1 D3AD8CC8 8722D19C
	v_mfma_scale_f32_16x16x128_f8f6f4 a[204:207], v[156:159], v[108:111], a[204:207], v193, v190 op_sel_hi:[0,0,0] cbsz:4 blgp:4// 0000000048F4: D3AC7800 00037DC1 D3AD8CCC 8732D99C
	v_mfma_scale_f32_16x16x128_f8f6f4 a[192:195], v[160:163], v[112:115], a[192:195], v193, v190 op_sel_hi:[0,0,0] cbsz:4 blgp:4// 000000004904: D3AC6000 18037DC1 D3AD8CC0 8702E1A0
	v_mfma_scale_f32_16x16x128_f8f6f4 a[196:199], v[160:163], v[116:119], a[196:199], v193, v190 op_sel_hi:[0,0,0] cbsz:4 blgp:4// 000000004914: D3AC7000 18037DC1 D3AD8CC4 8712E9A0
	s_add_u32 m0, 0x8400, s64                                  // 000000004924: 807C40FF 00008400
	buffer_load_dwordx4 v196, s[12:15], 0 offen lds            // 00000000492C: E05D1000 800300C4
	v_mfma_scale_f32_16x16x128_f8f6f4 a[200:203], v[164:167], v[112:115], a[200:203], v193, v190 op_sel_hi:[0,0,0] cbsz:4 blgp:4// 000000004934: D3AC6800 18037DC1 D3AD8CC8 8722E1A4
	v_mfma_scale_f32_16x16x128_f8f6f4 a[204:207], v[164:167], v[116:119], a[204:207], v193, v190 op_sel_hi:[0,0,0] cbsz:4 blgp:4// 000000004944: D3AC7800 18037DC1 D3AD8CCC 8732E9A4
	s_waitcnt vmcnt(19)                                        // 000000004954: BF8C4F73
	s_barrier                                                  // 000000004958: BF8A0000
	v_mfma_scale_f32_16x16x128_f8f6f4 a[16:19], v[168:171], v[8:11], a[16:19], v194, v184 op_sel_hi:[0,0,0] cbsz:4 blgp:4// 00000000495C: D3AC6000 000371C2 D3AD8C10 844211A8
	v_mfma_scale_f32_16x16x128_f8f6f4 a[20:23], v[168:171], v[12:15], a[20:23], v194, v184 op_sel_hi:[0,0,0] cbsz:4 blgp:4// 00000000496C: D3AC7000 000371C2 D3AD8C14 845219A8
	s_add_u32 m0, 0x9480, s64                                  // 00000000497C: 807C40FF 00009480
	buffer_load_dwordx4 v197, s[12:15], 0 offen lds            // 000000004984: E05D1000 800300C5
	v_mfma_scale_f32_16x16x128_f8f6f4 a[24:27], v[172:175], v[8:11], a[24:27], v194, v184 op_sel_hi:[0,0,0] cbsz:4 blgp:4// 00000000498C: D3AC6800 000371C2 D3AD8C18 846211AC
	v_mfma_scale_f32_16x16x128_f8f6f4 a[28:31], v[172:175], v[12:15], a[28:31], v194, v184 op_sel_hi:[0,0,0] cbsz:4 blgp:4// 00000000499C: D3AC7800 000371C2 D3AD8C1C 847219AC
	v_mfma_scale_f32_16x16x128_f8f6f4 a[16:19], v[176:179], v[16:19], a[16:19], v194, v184 op_sel_hi:[0,0,0] cbsz:4 blgp:4// 0000000049AC: D3AC6000 180371C2 D3AD8C10 844221B0
	v_mfma_scale_f32_16x16x128_f8f6f4 a[20:23], v[176:179], v[20:23], a[20:23], v194, v184 op_sel_hi:[0,0,0] cbsz:4 blgp:4// 0000000049BC: D3AC7000 180371C2 D3AD8C14 845229B0
	s_add_u32 m0, 0xa500, s64                                  // 0000000049CC: 807C40FF 0000A500
	buffer_load_dwordx4 v198, s[12:15], 0 offen lds            // 0000000049D4: E05D1000 800300C6
	v_mfma_scale_f32_16x16x128_f8f6f4 a[24:27], v[180:183], v[16:19], a[24:27], v194, v184 op_sel_hi:[0,0,0] cbsz:4 blgp:4// 0000000049DC: D3AC6800 180371C2 D3AD8C18 846221B4
	v_mfma_scale_f32_16x16x128_f8f6f4 a[28:31], v[180:183], v[20:23], a[28:31], v194, v184 op_sel_hi:[0,0,0] cbsz:4 blgp:4// 0000000049EC: D3AC7800 180371C2 D3AD8C1C 847229B4
	v_mfma_scale_f32_16x16x128_f8f6f4 a[48:51], v[168:171], v[24:27], a[48:51], v194, v185 op_sel_hi:[0,0,0] cbsz:4 blgp:4// 0000000049FC: D3AC6000 000373C2 D3AD8C30 84C231A8
	v_mfma_scale_f32_16x16x128_f8f6f4 a[52:55], v[168:171], v[28:31], a[52:55], v194, v185 op_sel_hi:[0,0,0] cbsz:4 blgp:4// 000000004A0C: D3AC7000 000373C2 D3AD8C34 84D239A8
	s_add_u32 m0, 0xb580, s64                                  // 000000004A1C: 807C40FF 0000B580
	buffer_load_dwordx4 v199, s[12:15], 0 offen lds            // 000000004A24: E05D1000 800300C7
	v_mfma_scale_f32_16x16x128_f8f6f4 a[56:59], v[172:175], v[24:27], a[56:59], v194, v185 op_sel_hi:[0,0,0] cbsz:4 blgp:4// 000000004A2C: D3AC6800 000373C2 D3AD8C38 84E231AC
	v_mfma_scale_f32_16x16x128_f8f6f4 a[60:63], v[172:175], v[28:31], a[60:63], v194, v185 op_sel_hi:[0,0,0] cbsz:4 blgp:4// 000000004A3C: D3AC7800 000373C2 D3AD8C3C 84F239AC
	v_mfma_scale_f32_16x16x128_f8f6f4 a[48:51], v[176:179], v[32:35], a[48:51], v194, v185 op_sel_hi:[0,0,0] cbsz:4 blgp:4// 000000004A4C: D3AC6000 180373C2 D3AD8C30 84C241B0
	v_mfma_scale_f32_16x16x128_f8f6f4 a[52:55], v[176:179], v[36:39], a[52:55], v194, v185 op_sel_hi:[0,0,0] cbsz:4 blgp:4// 000000004A5C: D3AC7000 180373C2 D3AD8C34 84D249B0
	s_add_u32 m0, 0xc600, s64                                  // 000000004A6C: 807C40FF 0000C600
	buffer_load_dwordx4 v200, s[12:15], 0 offen lds            // 000000004A74: E05D1000 800300C8
	v_mfma_scale_f32_16x16x128_f8f6f4 a[56:59], v[180:183], v[32:35], a[56:59], v194, v185 op_sel_hi:[0,0,0] cbsz:4 blgp:4// 000000004A7C: D3AC6800 180373C2 D3AD8C38 84E241B4
	v_mfma_scale_f32_16x16x128_f8f6f4 a[60:63], v[180:183], v[36:39], a[60:63], v194, v185 op_sel_hi:[0,0,0] cbsz:4 blgp:4// 000000004A8C: D3AC7800 180373C2 D3AD8C3C 84F249B4
	v_mfma_scale_f32_16x16x128_f8f6f4 a[80:83], v[168:171], v[40:43], a[80:83], v194, v186 op_sel_hi:[0,0,0] cbsz:4 blgp:4// 000000004A9C: D3AC6000 000375C2 D3AD8C50 854251A8
	v_mfma_scale_f32_16x16x128_f8f6f4 a[84:87], v[168:171], v[44:47], a[84:87], v194, v186 op_sel_hi:[0,0,0] cbsz:4 blgp:4// 000000004AAC: D3AC7000 000375C2 D3AD8C54 855259A8
	s_add_u32 m0, 0xd680, s64                                  // 000000004ABC: 807C40FF 0000D680
	buffer_load_dwordx4 v201, s[12:15], 0 offen lds            // 000000004AC4: E05D1000 800300C9
	v_mfma_scale_f32_16x16x128_f8f6f4 a[88:91], v[172:175], v[40:43], a[88:91], v194, v186 op_sel_hi:[0,0,0] cbsz:4 blgp:4// 000000004ACC: D3AC6800 000375C2 D3AD8C58 856251AC
	s_add_u32 s62, 0x300, s60                                  // 000000004ADC: 803E3CFF 00000300
	v_mfma_scale_f32_16x16x128_f8f6f4 a[92:95], v[172:175], v[44:47], a[92:95], v194, v186 op_sel_hi:[0,0,0] cbsz:4 blgp:4// 000000004AE4: D3AC7800 000375C2 D3AD8C5C 857259AC
	s_cmp_lt_u32 s62, s61                                      // 000000004AF4: BF0A3D3E
	v_mfma_scale_f32_16x16x128_f8f6f4 a[80:83], v[176:179], v[48:51], a[80:83], v194, v186 op_sel_hi:[0,0,0] cbsz:4 blgp:4// 000000004AF8: D3AC6000 180375C2 D3AD8C50 854261B0
	s_cselect_b32 s66, s66, 0                                  // 000000004B08: 85428042
	v_mfma_scale_f32_16x16x128_f8f6f4 a[84:87], v[176:179], v[52:55], a[84:87], v194, v186 op_sel_hi:[0,0,0] cbsz:4 blgp:4// 000000004B0C: D3AC7000 180375C2 D3AD8C54 855269B0
	s_cselect_b32 s68, s68, 0                                  // 000000004B1C: 85448044
	buffer_load_dwordx4 v[152:155], v207, s[16:19], 0 offen    // 000000004B20: E05C1000 800498CF
	v_mfma_scale_f32_16x16x128_f8f6f4 a[88:91], v[180:183], v[48:51], a[88:91], v194, v186 op_sel_hi:[0,0,0] cbsz:4 blgp:4// 000000004B28: D3AC6800 180375C2 D3AD8C58 856261B4
	s_add_u32 s12, s12, s66                                    // 000000004B38: 800C420C
	v_mfma_scale_f32_16x16x128_f8f6f4 a[92:95], v[180:183], v[52:55], a[92:95], v194, v186 op_sel_hi:[0,0,0] cbsz:4 blgp:4// 000000004B3C: D3AC7800 180375C2 D3AD8C5C 857269B4
	s_addc_u32 s13, 0, s13                                     // 000000004B4C: 820D0D80
	v_mfma_scale_f32_16x16x128_f8f6f4 a[112:115], v[168:171], v[56:59], a[112:115], v194, v187 op_sel_hi:[0,0,0] cbsz:4 blgp:4// 000000004B50: D3AC6000 000377C2 D3AD8C70 85C271A8
	s_sub_u32 s14, s14, s66                                    // 000000004B60: 808E420E
	v_mfma_scale_f32_16x16x128_f8f6f4 a[116:119], v[168:171], v[60:63], a[116:119], v194, v187 op_sel_hi:[0,0,0] cbsz:4 blgp:4// 000000004B64: D3AC7000 000377C2 D3AD8C74 85D279A8
	s_add_u32 s20, s20, s68                                    // 000000004B74: 80144414
	buffer_load_dwordx4 v[156:159], v208, s[16:19], 0 offen    // 000000004B78: E05C1000 80049CD0
	v_mfma_scale_f32_16x16x128_f8f6f4 a[120:123], v[172:175], v[56:59], a[120:123], v194, v187 op_sel_hi:[0,0,0] cbsz:4 blgp:4// 000000004B80: D3AC6800 000377C2 D3AD8C78 85E271AC
	s_addc_u32 s21, 0, s21                                     // 000000004B90: 82151580
	v_mfma_scale_f32_16x16x128_f8f6f4 a[124:127], v[172:175], v[60:63], a[124:127], v194, v187 op_sel_hi:[0,0,0] cbsz:4 blgp:4// 000000004B94: D3AC7800 000377C2 D3AD8C7C 85F279AC
	s_sub_u32 s22, s22, s68                                    // 000000004BA4: 80964416
	v_mfma_scale_f32_16x16x128_f8f6f4 a[112:115], v[176:179], v[64:67], a[112:115], v194, v187 op_sel_hi:[0,0,0] cbsz:4 blgp:4// 000000004BA8: D3AC6000 180377C2 D3AD8C70 85C281B0
	s_addk_i32 s60, 0x100                                      // 000000004BB8: B73C0100
	v_mfma_scale_f32_16x16x128_f8f6f4 a[116:119], v[176:179], v[68:71], a[116:119], v194, v187 op_sel_hi:[0,0,0] cbsz:4 blgp:4// 000000004BBC: D3AC7000 180377C2 D3AD8C74 85D289B0
	s_cmp_lt_i32 s60, s61                                      // 000000004BCC: BF043D3C
	buffer_load_dwordx4 v[160:163], v207, s[16:19], 0 offen offset:1024// 000000004BD0: E05C1400 8004A0CF
	v_mfma_scale_f32_16x16x128_f8f6f4 a[120:123], v[180:183], v[64:67], a[120:123], v194, v187 op_sel_hi:[0,0,0] cbsz:4 blgp:4// 000000004BD8: D3AC6800 180377C2 D3AD8C78 85E281B4
	v_mfma_scale_f32_16x16x128_f8f6f4 a[124:127], v[180:183], v[68:71], a[124:127], v194, v187 op_sel_hi:[0,0,0] cbsz:4 blgp:4// 000000004BE8: D3AC7800 180377C2 D3AD8C7C 85F289B4
	v_mfma_scale_f32_16x16x128_f8f6f4 a[144:147], v[168:171], v[72:75], a[144:147], v194, v188 op_sel_hi:[0,0,0] cbsz:4 blgp:4// 000000004BF8: D3AC6000 000379C2 D3AD8C90 864291A8
	v_mfma_scale_f32_16x16x128_f8f6f4 a[148:151], v[168:171], v[76:79], a[148:151], v194, v188 op_sel_hi:[0,0,0] cbsz:4 blgp:4// 000000004C08: D3AC1000 000379C2 D3AD8C94 865299A8
	buffer_load_dwordx4 v[164:167], v208, s[16:19], 0 offen offset:1024// 000000004C18: E05C1400 8004A4D0
	v_mfma_scale_f32_16x16x128_f8f6f4 a[152:155], v[172:175], v[72:75], a[152:155], v194, v188 op_sel_hi:[0,0,0] cbsz:4 blgp:4// 000000004C20: D3AC0800 000379C2 D3AD8C98 866291AC
	v_mfma_scale_f32_16x16x128_f8f6f4 a[156:159], v[172:175], v[76:79], a[156:159], v194, v188 op_sel_hi:[0,0,0] cbsz:4 blgp:4// 000000004C30: D3AC7800 000379C2 D3AD8C9C 867299AC
	v_mfma_scale_f32_16x16x128_f8f6f4 a[144:147], v[176:179], v[80:83], a[144:147], v194, v188 op_sel_hi:[0,0,0] cbsz:4 blgp:4// 000000004C40: D3AC6000 180379C2 D3AD8C90 8642A1B0
	v_mfma_scale_f32_16x16x128_f8f6f4 a[148:151], v[176:179], v[84:87], a[148:151], v194, v188 op_sel_hi:[0,0,0] cbsz:4 blgp:4// 000000004C50: D3AC7000 180379C2 D3AD8C94 8652A9B0
	buffer_load_dword v193, v211, s[24:27], 0 offen            // 000000004C60: E0501000 8006C1D3
	v_mfma_scale_f32_16x16x128_f8f6f4 a[152:155], v[180:183], v[80:83], a[152:155], v194, v188 op_sel_hi:[0,0,0] cbsz:4 blgp:4// 000000004C68: D3AC6800 180379C2 D3AD8C98 8662A1B4
	v_mfma_scale_f32_16x16x128_f8f6f4 a[156:159], v[180:183], v[84:87], a[156:159], v194, v188 op_sel_hi:[0,0,0] cbsz:4 blgp:4// 000000004C78: D3AC7800 180379C2 D3AD8C9C 8672A9B4
	v_mfma_scale_f32_16x16x128_f8f6f4 a[176:179], v[168:171], v[88:91], a[176:179], v194, v189 op_sel_hi:[0,0,0] cbsz:4 blgp:4// 000000004C88: D3AC6000 00037BC2 D3AD8CB0 86C2B1A8
	ds_read_b128 v[8:11], v202                                 // 000000004C98: D9FE0000 080000CA
	v_mfma_scale_f32_16x16x128_f8f6f4 a[180:183], v[168:171], v[92:95], a[180:183], v194, v189 op_sel_hi:[0,0,0] cbsz:4 blgp:4// 000000004CA0: D3AC7000 00037BC2 D3AD8CB4 86D2B9A8
	v_mfma_scale_f32_16x16x128_f8f6f4 a[184:187], v[172:175], v[88:91], a[184:187], v194, v189 op_sel_hi:[0,0,0] cbsz:4 blgp:4// 000000004CB0: D3AC6800 00037BC2 D3AD8CB8 86E2B1AC
	ds_read_b128 v[16:19], v202 offset:64                      // 000000004CC0: D9FE0040 100000CA
	v_mfma_scale_f32_16x16x128_f8f6f4 a[188:191], v[172:175], v[92:95], a[188:191], v194, v189 op_sel_hi:[0,0,0] cbsz:4 blgp:4// 000000004CC8: D3AC7800 00037BC2 D3AD8CBC 86F2B9AC
	v_mfma_scale_f32_16x16x128_f8f6f4 a[176:179], v[176:179], v[96:99], a[176:179], v194, v189 op_sel_hi:[0,0,0] cbsz:4 blgp:4// 000000004CD8: D3AC6000 18037BC2 D3AD8CB0 86C2C1B0
	ds_read_b128 v[12:15], v202 offset:512                     // 000000004CE8: D9FE0200 0C0000CA
	v_mfma_scale_f32_16x16x128_f8f6f4 a[180:183], v[176:179], v[100:103], a[180:183], v194, v189 op_sel_hi:[0,0,0] cbsz:4 blgp:4// 000000004CF0: D3AC7000 18037BC2 D3AD8CB4 86D2C9B0
	v_mfma_scale_f32_16x16x128_f8f6f4 a[184:187], v[180:183], v[96:99], a[184:187], v194, v189 op_sel_hi:[0,0,0] cbsz:4 blgp:4// 000000004D00: D3AC6800 18037BC2 D3AD8CB8 86E2C1B4
	ds_read_b128 v[20:23], v202 offset:576                     // 000000004D10: D9FE0240 140000CA
	v_mfma_scale_f32_16x16x128_f8f6f4 a[188:191], v[180:183], v[100:103], a[188:191], v194, v189 op_sel_hi:[0,0,0] cbsz:4 blgp:4// 000000004D18: D3AC7800 18037BC2 D3AD8CBC 86F2C9B4
	ds_read_b32 v184, v206                                     // 000000004D28: D86C0000 B80000CE
	v_mfma_scale_f32_16x16x128_f8f6f4 a[208:211], v[168:171], v[104:107], a[208:211], v194, v190 op_sel_hi:[0,0,0] cbsz:4 blgp:4// 000000004D30: D3AC6000 00037DC2 D3AD8CD0 8742D1A8
	ds_read_b128 v[24:27], v202 offset:4224                    // 000000004D40: D9FE1080 180000CA
	v_mfma_scale_f32_16x16x128_f8f6f4 a[212:215], v[168:171], v[108:111], a[212:215], v194, v190 op_sel_hi:[0,0,0] cbsz:4 blgp:4// 000000004D48: D3AC7000 00037DC2 D3AD8CD4 8752D9A8
	v_mfma_scale_f32_16x16x128_f8f6f4 a[216:219], v[172:175], v[104:107], a[216:219], v194, v190 op_sel_hi:[0,0,0] cbsz:4 blgp:4// 000000004D58: D3AC6800 00037DC2 D3AD8CD8 8762D1AC
	ds_read_b128 v[32:35], v202 offset:4288                    // 000000004D68: D9FE10C0 200000CA
	v_mfma_scale_f32_16x16x128_f8f6f4 a[220:223], v[172:175], v[108:111], a[220:223], v194, v190 op_sel_hi:[0,0,0] cbsz:4 blgp:4// 000000004D70: D3AC7800 00037DC2 D3AD8CDC 8772D9AC
	v_mfma_scale_f32_16x16x128_f8f6f4 a[208:211], v[176:179], v[112:115], a[208:211], v194, v190 op_sel_hi:[0,0,0] cbsz:4 blgp:4// 000000004D80: D3AC6000 18037DC2 D3AD8CD0 8742E1B0
	ds_read_b128 v[28:31], v202 offset:4736                    // 000000004D90: D9FE1280 1C0000CA
	v_mfma_scale_f32_16x16x128_f8f6f4 a[212:215], v[176:179], v[116:119], a[212:215], v194, v190 op_sel_hi:[0,0,0] cbsz:4 blgp:4// 000000004D98: D3AC7000 18037DC2 D3AD8CD4 8752E9B0
	v_mfma_scale_f32_16x16x128_f8f6f4 a[216:219], v[180:183], v[112:115], a[216:219], v194, v190 op_sel_hi:[0,0,0] cbsz:4 blgp:4// 000000004DA8: D3AC6800 18037DC2 D3AD8CD8 8762E1B4
	ds_read_b128 v[36:39], v202 offset:4800                    // 000000004DB8: D9FE12C0 240000CA
	v_mfma_scale_f32_16x16x128_f8f6f4 a[220:223], v[180:183], v[116:119], a[220:223], v194, v190 op_sel_hi:[0,0,0] cbsz:4 blgp:4// 000000004DC0: D3AC7800 18037DC2 D3AD8CDC 8772E9B4
	ds_read_b32 v185, v206 offset:256                          // 000000004DD0: D86C0100 B90000CE
	s_cbranch_scc0 label_0D3D                                  // 000000004DD8: BF8404C6
	s_branch label_03B3                                        // 000000004DDC: BF82FB3B

0000000000004de0 <label_0878>:
	s_waitcnt vmcnt(19)                                        // 000000004DE0: BF8C4F73
	s_barrier                                                  // 000000004DE4: BF8A0000
	s_waitcnt lgkmcnt(5)                                       // 000000004DE8: BF8CC57F
	v_mfma_scale_f32_16x16x128_f8f6f4 a[0:3], v[120:123], v[8:11], a[0:3], v191, v184 op_sel_hi:[0,0,0] cbsz:4 blgp:4// 000000004DEC: D3AC6000 000371BF D3AD8C00 84021178
	buffer_load_dwordx4 v[168:171], v209, s[16:19], 0 offen    // 000000004DFC: E05C1000 8004A8D1
	v_mfma_scale_f32_16x16x128_f8f6f4 a[4:7], v[120:123], v[12:15], a[4:7], v191, v184 op_sel_hi:[0,0,0] cbsz:4 blgp:4// 000000004E04: D3AC7000 000371BF D3AD8C04 84121978
	ds_read_b128 v[40:43], v202 offset:8448                    // 000000004E14: D9FE2100 280000CA
	v_mfma_scale_f32_16x16x128_f8f6f4 a[8:11], v[124:127], v[8:11], a[8:11], v191, v184 op_sel_hi:[0,0,0] cbsz:4 blgp:4// 000000004E1C: D3AC6800 000371BF D3AD8C08 8422117C
	v_mfma_scale_f32_16x16x128_f8f6f4 a[12:15], v[124:127], v[12:15], a[12:15], v191, v184 op_sel_hi:[0,0,0] cbsz:4 blgp:4// 000000004E2C: D3AC7800 000371BF D3AD8C0C 8432197C
	ds_read_b128 v[48:51], v202 offset:8512                    // 000000004E3C: D9FE2140 300000CA
	v_mfma_scale_f32_16x16x128_f8f6f4 a[0:3], v[128:131], v[16:19], a[0:3], v191, v184 op_sel_hi:[0,0,0] cbsz:4 blgp:4// 000000004E44: D3AC6000 180371BF D3AD8C00 84022180
	buffer_load_dwordx4 v[172:175], v210, s[16:19], 0 offen    // 000000004E54: E05C1000 8004ACD2
	v_mfma_scale_f32_16x16x128_f8f6f4 a[4:7], v[128:131], v[20:23], a[4:7], v191, v184 op_sel_hi:[0,0,0] cbsz:4 blgp:4// 000000004E5C: D3AC7000 180371BF D3AD8C04 84122980
	ds_read_b128 v[44:47], v202 offset:8960                    // 000000004E6C: D9FE2300 2C0000CA
	v_mfma_scale_f32_16x16x128_f8f6f4 a[8:11], v[132:135], v[16:19], a[8:11], v191, v184 op_sel_hi:[0,0,0] cbsz:4 blgp:4// 000000004E74: D3AC6800 180371BF D3AD8C08 84222184
	v_mfma_scale_f32_16x16x128_f8f6f4 a[12:15], v[132:135], v[20:23], a[12:15], v191, v184 op_sel_hi:[0,0,0] cbsz:4 blgp:4// 000000004E84: D3AC7800 180371BF D3AD8C0C 84322984
	ds_read_b128 v[52:55], v202 offset:9024                    // 000000004E94: D9FE2340 340000CA
	ds_read_b32 v186, v206 offset:512                          // 000000004E9C: D86C0200 BA0000CE
	s_waitcnt lgkmcnt(5)                                       // 000000004EA4: BF8CC57F
	v_mfma_scale_f32_16x16x128_f8f6f4 a[32:35], v[120:123], v[24:27], a[32:35], v191, v185 op_sel_hi:[0,0,0] cbsz:4 blgp:4// 000000004EA8: D3AC6000 000373BF D3AD8C20 84823178
	buffer_load_dwordx4 v[176:179], v209, s[16:19], 0 offen offset:1024// 000000004EB8: E05C1400 8004B0D1
	v_mfma_scale_f32_16x16x128_f8f6f4 a[36:39], v[120:123], v[28:31], a[36:39], v191, v185 op_sel_hi:[0,0,0] cbsz:4 blgp:4// 000000004EC0: D3AC7000 000373BF D3AD8C24 84923978
	ds_read_b128 v[56:59], v202 offset:12672                   // 000000004ED0: D9FE3180 380000CA
	v_mfma_scale_f32_16x16x128_f8f6f4 a[40:43], v[124:127], v[24:27], a[40:43], v191, v185 op_sel_hi:[0,0,0] cbsz:4 blgp:4// 000000004ED8: D3AC6800 000373BF D3AD8C28 84A2317C
	v_mfma_scale_f32_16x16x128_f8f6f4 a[44:47], v[124:127], v[28:31], a[44:47], v191, v185 op_sel_hi:[0,0,0] cbsz:4 blgp:4// 000000004EE8: D3AC7800 000373BF D3AD8C2C 84B2397C
	ds_read_b128 v[64:67], v202 offset:12736                   // 000000004EF8: D9FE31C0 400000CA
	v_mfma_scale_f32_16x16x128_f8f6f4 a[32:35], v[128:131], v[32:35], a[32:35], v191, v185 op_sel_hi:[0,0,0] cbsz:4 blgp:4// 000000004F00: D3AC6000 180373BF D3AD8C20 84824180
	buffer_load_dwordx4 v[180:183], v210, s[16:19], 0 offen offset:1024// 000000004F10: E05C1400 8004B4D2
	v_mfma_scale_f32_16x16x128_f8f6f4 a[36:39], v[128:131], v[36:39], a[36:39], v191, v185 op_sel_hi:[0,0,0] cbsz:4 blgp:4// 000000004F18: D3AC7000 180373BF D3AD8C24 84924980
	ds_read_b128 v[60:63], v202 offset:13184                   // 000000004F28: D9FE3380 3C0000CA
	v_mfma_scale_f32_16x16x128_f8f6f4 a[40:43], v[132:135], v[32:35], a[40:43], v191, v185 op_sel_hi:[0,0,0] cbsz:4 blgp:4// 000000004F30: D3AC6800 180373BF D3AD8C28 84A24184
	v_mfma_scale_f32_16x16x128_f8f6f4 a[44:47], v[132:135], v[36:39], a[44:47], v191, v185 op_sel_hi:[0,0,0] cbsz:4 blgp:4// 000000004F40: D3AC7800 180373BF D3AD8C2C 84B24984
	ds_read_b128 v[68:71], v202 offset:13248                   // 000000004F50: D9FE33C0 440000CA
	ds_read_b32 v187, v206 offset:768                          // 000000004F58: D86C0300 BB0000CE
	s_waitcnt lgkmcnt(5)                                       // 000000004F60: BF8CC57F
	v_mfma_scale_f32_16x16x128_f8f6f4 a[64:67], v[120:123], v[40:43], a[64:67], v191, v186 op_sel_hi:[0,0,0] cbsz:4 blgp:4// 000000004F64: D3AC6000 000375BF D3AD8C40 85025178
	buffer_load_dword v194, v212, s[24:27], 0 offen            // 000000004F74: E0501000 8006C2D4
	v_mfma_scale_f32_16x16x128_f8f6f4 a[68:71], v[120:123], v[44:47], a[68:71], v191, v186 op_sel_hi:[0,0,0] cbsz:4 blgp:4// 000000004F7C: D3AC7000 000375BF D3AD8C44 85125978
	s_add_u32 s63, 0x200, s60                                  // 000000004F8C: 803F3CFF 00000200
	ds_read_b128 v[72:75], v202 offset:16896                   // 000000004F94: D9FE4200 480000CA
	v_mfma_scale_f32_16x16x128_f8f6f4 a[72:75], v[124:127], v[40:43], a[72:75], v191, v186 op_sel_hi:[0,0,0] cbsz:4 blgp:4// 000000004F9C: D3AC6800 000375BF D3AD8C48 8522517C
	s_cmp_lt_u32 s63, s61                                      // 000000004FAC: BF0A3D3F
	v_mfma_scale_f32_16x16x128_f8f6f4 a[76:79], v[124:127], v[44:47], a[76:79], v191, v186 op_sel_hi:[0,0,0] cbsz:4 blgp:4// 000000004FB0: D3AC7800 000375BF D3AD8C4C 8532597C
	s_cselect_b32 s67, s67, 0                                  // 000000004FC0: 85438043
	ds_read_b128 v[80:83], v202 offset:16960                   // 000000004FC4: D9FE4240 500000CA
	v_mfma_scale_f32_16x16x128_f8f6f4 a[64:67], v[128:131], v[48:51], a[64:67], v191, v186 op_sel_hi:[0,0,0] cbsz:4 blgp:4// 000000004FCC: D3AC6000 180375BF D3AD8C40 85026180
	s_cselect_b32 s69, s69, 0                                  // 000000004FDC: 85458045
	v_mfma_scale_f32_16x16x128_f8f6f4 a[68:71], v[128:131], v[52:55], a[68:71], v191, v186 op_sel_hi:[0,0,0] cbsz:4 blgp:4// 000000004FE0: D3AC7000 180375BF D3AD8C44 85126980
	s_add_u32 s16, s16, s67                                    // 000000004FF0: 80104310
	ds_read_b128 v[76:79], v202 offset:17408                   // 000000004FF4: D9FE4400 4C0000CA
	v_mfma_scale_f32_16x16x128_f8f6f4 a[72:75], v[132:135], v[48:51], a[72:75], v191, v186 op_sel_hi:[0,0,0] cbsz:4 blgp:4// 000000004FFC: D3AC6800 180375BF D3AD8C48 85226184
	s_addc_u32 s17, 0, s17                                     // 00000000500C: 82111180
	v_mfma_scale_f32_16x16x128_f8f6f4 a[76:79], v[132:135], v[52:55], a[76:79], v191, v186 op_sel_hi:[0,0,0] cbsz:4 blgp:4// 000000005010: D3AC7800 180375BF D3AD8C4C 85326984
	s_sub_u32 s18, s18, s67                                    // 000000005020: 80924312
	ds_read_b128 v[84:87], v202 offset:17472                   // 000000005024: D9FE4440 540000CA
	ds_read_b32 v188, v206 offset:1024                         // 00000000502C: D86C0400 BC0000CE
	s_waitcnt lgkmcnt(5)                                       // 000000005034: BF8CC57F
	v_mfma_scale_f32_16x16x128_f8f6f4 a[96:99], v[120:123], v[56:59], a[96:99], v191, v187 op_sel_hi:[0,0,0] cbsz:4 blgp:4// 000000005038: D3AC6000 000377BF D3AD8C60 85827178
	s_add_u32 s24, s24, s69                                    // 000000005048: 80184518
	v_mfma_scale_f32_16x16x128_f8f6f4 a[100:103], v[120:123], v[60:63], a[100:103], v191, v187 op_sel_hi:[0,0,0] cbsz:4 blgp:4// 00000000504C: D3AC7000 000377BF D3AD8C64 85927978
	s_addc_u32 s25, 0, s25                                     // 00000000505C: 82191980
	ds_read_b128 v[88:91], v202 offset:21120                   // 000000005060: D9FE5280 580000CA
	v_mfma_scale_f32_16x16x128_f8f6f4 a[104:107], v[124:127], v[56:59], a[104:107], v191, v187 op_sel_hi:[0,0,0] cbsz:4 blgp:4// 000000005068: D3AC6800 000377BF D3AD8C68 85A2717C
	s_sub_u32 s26, s26, s69                                    // 000000005078: 809A451A
	v_mfma_scale_f32_16x16x128_f8f6f4 a[108:111], v[124:127], v[60:63], a[108:111], v191, v187 op_sel_hi:[0,0,0] cbsz:4 blgp:4// 00000000507C: D3AC7800 000377BF D3AD8C6C 85B2797C
	ds_read_b128 v[96:99], v202 offset:21184                   // 00000000508C: D9FE52C0 600000CA
	v_mfma_scale_f32_16x16x128_f8f6f4 a[96:99], v[128:131], v[64:67], a[96:99], v191, v187 op_sel_hi:[0,0,0] cbsz:4 blgp:4// 000000005094: D3AC6000 180377BF D3AD8C60 85828180
	v_mfma_scale_f32_16x16x128_f8f6f4 a[100:103], v[128:131], v[68:71], a[100:103], v191, v187 op_sel_hi:[0,0,0] cbsz:4 blgp:4// 0000000050A4: D3AC7000 180377BF D3AD8C64 85928980
	ds_read_b128 v[92:95], v202 offset:21632                   // 0000000050B4: D9FE5480 5C0000CA
	v_mfma_scale_f32_16x16x128_f8f6f4 a[104:107], v[132:135], v[64:67], a[104:107], v191, v187 op_sel_hi:[0,0,0] cbsz:4 blgp:4// 0000000050BC: D3AC6800 180377BF D3AD8C68 85A28184
	v_mfma_scale_f32_16x16x128_f8f6f4 a[108:111], v[132:135], v[68:71], a[108:111], v191, v187 op_sel_hi:[0,0,0] cbsz:4 blgp:4// 0000000050CC: D3AC7800 180377BF D3AD8C6C 85B28984
	ds_read_b128 v[100:103], v202 offset:21696                 // 0000000050DC: D9FE54C0 640000CA
	ds_read_b32 v189, v206 offset:1280                         // 0000000050E4: D86C0500 BD0000CE
	s_waitcnt lgkmcnt(5)                                       // 0000000050EC: BF8CC57F
	v_mfma_scale_f32_16x16x128_f8f6f4 a[128:131], v[120:123], v[72:75], a[128:131], v191, v188 op_sel_hi:[0,0,0] cbsz:4 blgp:4// 0000000050F0: D3AC6000 000379BF D3AD8C80 86029178
	v_mfma_scale_f32_16x16x128_f8f6f4 a[132:135], v[120:123], v[76:79], a[132:135], v191, v188 op_sel_hi:[0,0,0] cbsz:4 blgp:4// 000000005100: D3AC7000 000379BF D3AD8C84 86129978
	ds_read_b128 v[104:107], v202 offset:25344                 // 000000005110: D9FE6300 680000CA
	v_mfma_scale_f32_16x16x128_f8f6f4 a[136:139], v[124:127], v[72:75], a[136:139], v191, v188 op_sel_hi:[0,0,0] cbsz:4 blgp:4// 000000005118: D3AC6800 000379BF D3AD8C88 8622917C
	v_mfma_scale_f32_16x16x128_f8f6f4 a[140:143], v[124:127], v[76:79], a[140:143], v191, v188 op_sel_hi:[0,0,0] cbsz:4 blgp:4// 000000005128: D3AC7800 000379BF D3AD8C8C 8632997C
	ds_read_b128 v[112:115], v202 offset:25408                 // 000000005138: D9FE6340 700000CA
	v_mfma_scale_f32_16x16x128_f8f6f4 a[128:131], v[128:131], v[80:83], a[128:131], v191, v188 op_sel_hi:[0,0,0] cbsz:4 blgp:4// 000000005140: D3AC6000 180379BF D3AD8C80 8602A180
	v_mfma_scale_f32_16x16x128_f8f6f4 a[132:135], v[128:131], v[84:87], a[132:135], v191, v188 op_sel_hi:[0,0,0] cbsz:4 blgp:4// 000000005150: D3AC7000 180379BF D3AD8C84 8612A980
	ds_read_b128 v[108:111], v202 offset:25856                 // 000000005160: D9FE6500 6C0000CA
	v_mfma_scale_f32_16x16x128_f8f6f4 a[136:139], v[132:135], v[80:83], a[136:139], v191, v188 op_sel_hi:[0,0,0] cbsz:4 blgp:4// 000000005168: D3AC6800 180379BF D3AD8C88 8622A184
	v_mfma_scale_f32_16x16x128_f8f6f4 a[140:143], v[132:135], v[84:87], a[140:143], v191, v188 op_sel_hi:[0,0,0] cbsz:4 blgp:4// 000000005178: D3AC7800 180379BF D3AD8C8C 8632A984
	ds_read_b128 v[116:119], v202 offset:25920                 // 000000005188: D9FE6540 740000CA
	ds_read_b32 v190, v206 offset:1536                         // 000000005190: D86C0600 BE0000CE
	s_barrier                                                  // 000000005198: BF8A0000
	s_waitcnt lgkmcnt(5)                                       // 00000000519C: BF8CC57F
	v_mfma_scale_f32_16x16x128_f8f6f4 a[160:163], v[120:123], v[88:91], a[160:163], v191, v189 op_sel_hi:[0,0,0] cbsz:4 blgp:4// 0000000051A0: D3AC6000 00037BBF D3AD8CA0 8682B178
	s_add_u32 m0, 0, s65                                       // 0000000051B0: 807C4180
	buffer_load_dword v204, s[20:23], 0 offen lds              // 0000000051B4: E0511000 800500CC
	v_mfma_scale_f32_16x16x128_f8f6f4 a[164:167], v[120:123], v[92:95], a[164:167], v191, v189 op_sel_hi:[0,0,0] cbsz:4 blgp:4// 0000000051BC: D3AC7000 00037BBF D3AD8CA4 8692B978
	v_mfma_scale_f32_16x16x128_f8f6f4 a[168:171], v[124:127], v[88:91], a[168:171], v191, v189 op_sel_hi:[0,0,0] cbsz:4 blgp:4// 0000000051CC: D3AC6800 00037BBF D3AD8CA8 86A2B17C
	v_mfma_scale_f32_16x16x128_f8f6f4 a[172:175], v[124:127], v[92:95], a[172:175], v191, v189 op_sel_hi:[0,0,0] cbsz:4 blgp:4// 0000000051DC: D3AC7800 00037BBF D3AD8CAC 86B2B97C
	v_mfma_scale_f32_16x16x128_f8f6f4 a[160:163], v[128:131], v[96:99], a[160:163], v191, v189 op_sel_hi:[0,0,0] cbsz:4 blgp:4// 0000000051EC: D3AC6000 18037BBF D3AD8CA0 8682C180
	s_add_u32 m0, 0x400, s65                                   // 0000000051FC: 807C41FF 00000400
	buffer_load_dword v205, s[20:23], 0 offen lds              // 000000005204: E0511000 800500CD
	v_mfma_scale_f32_16x16x128_f8f6f4 a[164:167], v[128:131], v[100:103], a[164:167], v191, v189 op_sel_hi:[0,0,0] cbsz:4 blgp:4// 00000000520C: D3AC7000 18037BBF D3AD8CA4 8692C980
	v_mfma_scale_f32_16x16x128_f8f6f4 a[168:171], v[132:135], v[96:99], a[168:171], v191, v189 op_sel_hi:[0,0,0] cbsz:4 blgp:4// 00000000521C: D3AC6800 18037BBF D3AD8CA8 86A2C184
	v_mfma_scale_f32_16x16x128_f8f6f4 a[172:175], v[132:135], v[100:103], a[172:175], v191, v189 op_sel_hi:[0,0,0] cbsz:4 blgp:4// 00000000522C: D3AC1800 18037BBF D3AD8CAC 86B2C984
	s_waitcnt lgkmcnt(0)                                       // 00000000523C: BF8CC07F
	v_mfma_scale_f32_16x16x128_f8f6f4 a[192:195], v[120:123], v[104:107], a[192:195], v191, v190 op_sel_hi:[0,0,0] cbsz:4 blgp:4// 000000005240: D3AC0000 00037DBF D3AD8CC0 8702D178
	s_add_u32 m0, 0, s64                                       // 000000005250: 807C4080
	buffer_load_dwordx4 v195, s[12:15], 0 offen lds            // 000000005254: E05D1000 800300C3
	v_mfma_scale_f32_16x16x128_f8f6f4 a[196:199], v[120:123], v[108:111], a[196:199], v191, v190 op_sel_hi:[0,0,0] cbsz:4 blgp:4// 00000000525C: D3AC7000 00037DBF D3AD8CC4 8712D978
	v_mfma_scale_f32_16x16x128_f8f6f4 a[200:203], v[124:127], v[104:107], a[200:203], v191, v190 op_sel_hi:[0,0,0] cbsz:4 blgp:4// 00000000526C: D3AC6800 00037DBF D3AD8CC8 8722D17C
	v_mfma_scale_f32_16x16x128_f8f6f4 a[204:207], v[124:127], v[108:111], a[204:207], v191, v190 op_sel_hi:[0,0,0] cbsz:4 blgp:4// 00000000527C: D3AC7800 00037DBF D3AD8CCC 8732D97C
	v_mfma_scale_f32_16x16x128_f8f6f4 a[192:195], v[128:131], v[112:115], a[192:195], v191, v190 op_sel_hi:[0,0,0] cbsz:4 blgp:4// 00000000528C: D3AC6000 18037DBF D3AD8CC0 8702E180
	s_add_u32 m0, 0x1080, s64                                  // 00000000529C: 807C40FF 00001080
	buffer_load_dwordx4 v196, s[12:15], 0 offen lds            // 0000000052A4: E05D1000 800300C4
	v_mfma_scale_f32_16x16x128_f8f6f4 a[196:199], v[128:131], v[116:119], a[196:199], v191, v190 op_sel_hi:[0,0,0] cbsz:4 blgp:4// 0000000052AC: D3AC7000 18037DBF D3AD8CC4 8712E980
	v_mfma_scale_f32_16x16x128_f8f6f4 a[200:203], v[132:135], v[112:115], a[200:203], v191, v190 op_sel_hi:[0,0,0] cbsz:4 blgp:4// 0000000052BC: D3AC6800 18037DBF D3AD8CC8 8722E184
	v_mfma_scale_f32_16x16x128_f8f6f4 a[204:207], v[132:135], v[116:119], a[204:207], v191, v190 op_sel_hi:[0,0,0] cbsz:4 blgp:4// 0000000052CC: D3AC7800 18037DBF D3AD8CCC 8732E984
	s_waitcnt vmcnt(19)                                        // 0000000052DC: BF8C4F73
	s_barrier                                                  // 0000000052E0: BF8A0000
	v_mfma_scale_f32_16x16x128_f8f6f4 a[16:19], v[136:139], v[8:11], a[16:19], v192, v184 op_sel_hi:[0,0,0] cbsz:4 blgp:4// 0000000052E4: D3AC6000 000371C0 D3AD8C10 84421188
	s_add_u32 m0, 0x2100, s64                                  // 0000000052F4: 807C40FF 00002100
	buffer_load_dwordx4 v197, s[12:15], 0 offen lds            // 0000000052FC: E05D1000 800300C5
	v_mfma_scale_f32_16x16x128_f8f6f4 a[20:23], v[136:139], v[12:15], a[20:23], v192, v184 op_sel_hi:[0,0,0] cbsz:4 blgp:4// 000000005304: D3AC7000 000371C0 D3AD8C14 84521988
	v_mfma_scale_f32_16x16x128_f8f6f4 a[24:27], v[140:143], v[8:11], a[24:27], v192, v184 op_sel_hi:[0,0,0] cbsz:4 blgp:4// 000000005314: D3AC6800 000371C0 D3AD8C18 8462118C
	v_mfma_scale_f32_16x16x128_f8f6f4 a[28:31], v[140:143], v[12:15], a[28:31], v192, v184 op_sel_hi:[0,0,0] cbsz:4 blgp:4// 000000005324: D3AC7800 000371C0 D3AD8C1C 8472198C
	v_mfma_scale_f32_16x16x128_f8f6f4 a[16:19], v[144:147], v[16:19], a[16:19], v192, v184 op_sel_hi:[0,0,0] cbsz:4 blgp:4// 000000005334: D3AC6000 180371C0 D3AD8C10 84422190
	s_add_u32 m0, 0x3180, s64                                  // 000000005344: 807C40FF 00003180
	buffer_load_dwordx4 v198, s[12:15], 0 offen lds            // 00000000534C: E05D1000 800300C6
	v_mfma_scale_f32_16x16x128_f8f6f4 a[20:23], v[144:147], v[20:23], a[20:23], v192, v184 op_sel_hi:[0,0,0] cbsz:4 blgp:4// 000000005354: D3AC7000 180371C0 D3AD8C14 84522990
	v_mfma_scale_f32_16x16x128_f8f6f4 a[24:27], v[148:151], v[16:19], a[24:27], v192, v184 op_sel_hi:[0,0,0] cbsz:4 blgp:4// 000000005364: D3AC6800 180371C0 D3AD8C18 84622194
	v_mfma_scale_f32_16x16x128_f8f6f4 a[28:31], v[148:151], v[20:23], a[28:31], v192, v184 op_sel_hi:[0,0,0] cbsz:4 blgp:4// 000000005374: D3AC7800 180371C0 D3AD8C1C 84722994
	v_mfma_scale_f32_16x16x128_f8f6f4 a[48:51], v[136:139], v[24:27], a[48:51], v192, v185 op_sel_hi:[0,0,0] cbsz:4 blgp:4// 000000005384: D3AC6000 000373C0 D3AD8C30 84C23188
	s_add_u32 m0, 0x4200, s64                                  // 000000005394: 807C40FF 00004200
	buffer_load_dwordx4 v199, s[12:15], 0 offen lds            // 00000000539C: E05D1000 800300C7
	v_mfma_scale_f32_16x16x128_f8f6f4 a[52:55], v[136:139], v[28:31], a[52:55], v192, v185 op_sel_hi:[0,0,0] cbsz:4 blgp:4// 0000000053A4: D3AC7000 000373C0 D3AD8C34 84D23988
	v_mfma_scale_f32_16x16x128_f8f6f4 a[56:59], v[140:143], v[24:27], a[56:59], v192, v185 op_sel_hi:[0,0,0] cbsz:4 blgp:4// 0000000053B4: D3AC6800 000373C0 D3AD8C38 84E2318C
	v_mfma_scale_f32_16x16x128_f8f6f4 a[60:63], v[140:143], v[28:31], a[60:63], v192, v185 op_sel_hi:[0,0,0] cbsz:4 blgp:4// 0000000053C4: D3AC7800 000373C0 D3AD8C3C 84F2398C
	v_mfma_scale_f32_16x16x128_f8f6f4 a[48:51], v[144:147], v[32:35], a[48:51], v192, v185 op_sel_hi:[0,0,0] cbsz:4 blgp:4// 0000000053D4: D3AC6000 180373C0 D3AD8C30 84C24190
	s_add_u32 m0, 0x5280, s64                                  // 0000000053E4: 807C40FF 00005280
	buffer_load_dwordx4 v200, s[12:15], 0 offen lds            // 0000000053EC: E05D1000 800300C8
	v_mfma_scale_f32_16x16x128_f8f6f4 a[52:55], v[144:147], v[36:39], a[52:55], v192, v185 op_sel_hi:[0,0,0] cbsz:4 blgp:4// 0000000053F4: D3AC7000 180373C0 D3AD8C34 84D24990
	v_mfma_scale_f32_16x16x128_f8f6f4 a[56:59], v[148:151], v[32:35], a[56:59], v192, v185 op_sel_hi:[0,0,0] cbsz:4 blgp:4// 000000005404: D3AC6800 180373C0 D3AD8C38 84E24194
	v_mfma_scale_f32_16x16x128_f8f6f4 a[60:63], v[148:151], v[36:39], a[60:63], v192, v185 op_sel_hi:[0,0,0] cbsz:4 blgp:4// 000000005414: D3AC7800 180373C0 D3AD8C3C 84F24994
	v_mfma_scale_f32_16x16x128_f8f6f4 a[80:83], v[136:139], v[40:43], a[80:83], v192, v186 op_sel_hi:[0,0,0] cbsz:4 blgp:4// 000000005424: D3AC6000 000375C0 D3AD8C50 85425188
	s_add_u32 m0, 0x6300, s64                                  // 000000005434: 807C40FF 00006300
	buffer_load_dwordx4 v201, s[12:15], 0 offen lds            // 00000000543C: E05D1000 800300C9
	v_mfma_scale_f32_16x16x128_f8f6f4 a[84:87], v[136:139], v[44:47], a[84:87], v192, v186 op_sel_hi:[0,0,0] cbsz:4 blgp:4// 000000005444: D3AC7000 000375C0 D3AD8C54 85525988
	s_add_u32 s62, 0x300, s60                                  // 000000005454: 803E3CFF 00000300
	v_mfma_scale_f32_16x16x128_f8f6f4 a[88:91], v[140:143], v[40:43], a[88:91], v192, v186 op_sel_hi:[0,0,0] cbsz:4 blgp:4// 00000000545C: D3AC6800 000375C0 D3AD8C58 8562518C
	s_cmp_lt_u32 s62, s61                                      // 00000000546C: BF0A3D3E
	v_mfma_scale_f32_16x16x128_f8f6f4 a[92:95], v[140:143], v[44:47], a[92:95], v192, v186 op_sel_hi:[0,0,0] cbsz:4 blgp:4// 000000005470: D3AC7800 000375C0 D3AD8C5C 8572598C
	s_cselect_b32 s66, s66, 0                                  // 000000005480: 85428042
	v_mfma_scale_f32_16x16x128_f8f6f4 a[80:83], v[144:147], v[48:51], a[80:83], v192, v186 op_sel_hi:[0,0,0] cbsz:4 blgp:4// 000000005484: D3AC6000 180375C0 D3AD8C50 85426190
	s_cselect_b32 s68, s68, 0                                  // 000000005494: 85448044
	buffer_load_dwordx4 v[120:123], v207, s[16:19], 0 offen    // 000000005498: E05C1000 800478CF
	v_mfma_scale_f32_16x16x128_f8f6f4 a[84:87], v[144:147], v[52:55], a[84:87], v192, v186 op_sel_hi:[0,0,0] cbsz:4 blgp:4// 0000000054A0: D3AC7000 180375C0 D3AD8C54 85526990
	s_add_u32 s12, s12, s66                                    // 0000000054B0: 800C420C
	v_mfma_scale_f32_16x16x128_f8f6f4 a[88:91], v[148:151], v[48:51], a[88:91], v192, v186 op_sel_hi:[0,0,0] cbsz:4 blgp:4// 0000000054B4: D3AC6800 180375C0 D3AD8C58 85626194
	s_addc_u32 s13, 0, s13                                     // 0000000054C4: 820D0D80
	v_mfma_scale_f32_16x16x128_f8f6f4 a[92:95], v[148:151], v[52:55], a[92:95], v192, v186 op_sel_hi:[0,0,0] cbsz:4 blgp:4// 0000000054C8: D3AC7800 180375C0 D3AD8C5C 85726994
	s_sub_u32 s14, s14, s66                                    // 0000000054D8: 808E420E
	v_mfma_scale_f32_16x16x128_f8f6f4 a[112:115], v[136:139], v[56:59], a[112:115], v192, v187 op_sel_hi:[0,0,0] cbsz:4 blgp:4// 0000000054DC: D3AC6000 000377C0 D3AD8C70 85C27188
	s_add_u32 s20, s20, s68                                    // 0000000054EC: 80144414
	buffer_load_dwordx4 v[124:127], v208, s[16:19], 0 offen    // 0000000054F0: E05C1000 80047CD0
	v_mfma_scale_f32_16x16x128_f8f6f4 a[116:119], v[136:139], v[60:63], a[116:119], v192, v187 op_sel_hi:[0,0,0] cbsz:4 blgp:4// 0000000054F8: D3AC7000 000377C0 D3AD8C74 85D27988
	s_addc_u32 s21, 0, s21                                     // 000000005508: 82151580
	v_mfma_scale_f32_16x16x128_f8f6f4 a[120:123], v[140:143], v[56:59], a[120:123], v192, v187 op_sel_hi:[0,0,0] cbsz:4 blgp:4// 00000000550C: D3AC6800 000377C0 D3AD8C78 85E2718C
	s_sub_u32 s22, s22, s68                                    // 00000000551C: 80964416
	v_mfma_scale_f32_16x16x128_f8f6f4 a[124:127], v[140:143], v[60:63], a[124:127], v192, v187 op_sel_hi:[0,0,0] cbsz:4 blgp:4// 000000005520: D3AC7800 000377C0 D3AD8C7C 85F2798C
	s_addk_i32 s60, 0x100                                      // 000000005530: B73C0100
	v_mfma_scale_f32_16x16x128_f8f6f4 a[112:115], v[144:147], v[64:67], a[112:115], v192, v187 op_sel_hi:[0,0,0] cbsz:4 blgp:4// 000000005534: D3AC6000 180377C0 D3AD8C70 85C28190
	s_cmp_lt_i32 s60, s61                                      // 000000005544: BF043D3C
	buffer_load_dwordx4 v[128:131], v207, s[16:19], 0 offen offset:1024// 000000005548: E05C1400 800480CF
	v_mfma_scale_f32_16x16x128_f8f6f4 a[116:119], v[144:147], v[68:71], a[116:119], v192, v187 op_sel_hi:[0,0,0] cbsz:4 blgp:4// 000000005550: D3AC7000 180377C0 D3AD8C74 85D28990
	v_mfma_scale_f32_16x16x128_f8f6f4 a[120:123], v[148:151], v[64:67], a[120:123], v192, v187 op_sel_hi:[0,0,0] cbsz:4 blgp:4// 000000005560: D3AC6800 180377C0 D3AD8C78 85E28194
	v_mfma_scale_f32_16x16x128_f8f6f4 a[124:127], v[148:151], v[68:71], a[124:127], v192, v187 op_sel_hi:[0,0,0] cbsz:4 blgp:4// 000000005570: D3AC7800 180377C0 D3AD8C7C 85F28994
	v_mfma_scale_f32_16x16x128_f8f6f4 a[144:147], v[136:139], v[72:75], a[144:147], v192, v188 op_sel_hi:[0,0,0] cbsz:4 blgp:4// 000000005580: D3AC6000 000379C0 D3AD8C90 86429188
	buffer_load_dwordx4 v[132:135], v208, s[16:19], 0 offen offset:1024// 000000005590: E05C1400 800484D0
	v_mfma_scale_f32_16x16x128_f8f6f4 a[148:151], v[136:139], v[76:79], a[148:151], v192, v188 op_sel_hi:[0,0,0] cbsz:4 blgp:4// 000000005598: D3AC7000 000379C0 D3AD8C94 86529988
	v_mfma_scale_f32_16x16x128_f8f6f4 a[152:155], v[140:143], v[72:75], a[152:155], v192, v188 op_sel_hi:[0,0,0] cbsz:4 blgp:4// 0000000055A8: D3AC6800 000379C0 D3AD8C98 8662918C
	v_mfma_scale_f32_16x16x128_f8f6f4 a[156:159], v[140:143], v[76:79], a[156:159], v192, v188 op_sel_hi:[0,0,0] cbsz:4 blgp:4// 0000000055B8: D3AC7800 000379C0 D3AD8C9C 8672998C
	v_mfma_scale_f32_16x16x128_f8f6f4 a[144:147], v[144:147], v[80:83], a[144:147], v192, v188 op_sel_hi:[0,0,0] cbsz:4 blgp:4// 0000000055C8: D3AC6000 180379C0 D3AD8C90 8642A190
	buffer_load_dword v191, v211, s[24:27], 0 offen            // 0000000055D8: E0501000 8006BFD3
	v_mfma_scale_f32_16x16x128_f8f6f4 a[148:151], v[144:147], v[84:87], a[148:151], v192, v188 op_sel_hi:[0,0,0] cbsz:4 blgp:4// 0000000055E0: D3AC7000 180379C0 D3AD8C94 8652A990
	v_mfma_scale_f32_16x16x128_f8f6f4 a[152:155], v[148:151], v[80:83], a[152:155], v192, v188 op_sel_hi:[0,0,0] cbsz:4 blgp:4// 0000000055F0: D3AC6800 180379C0 D3AD8C98 8662A194
	v_mfma_scale_f32_16x16x128_f8f6f4 a[156:159], v[148:151], v[84:87], a[156:159], v192, v188 op_sel_hi:[0,0,0] cbsz:4 blgp:4// 000000005600: D3AC7800 180379C0 D3AD8C9C 8672A994
	v_mfma_scale_f32_16x16x128_f8f6f4 a[176:179], v[136:139], v[88:91], a[176:179], v192, v189 op_sel_hi:[0,0,0] cbsz:4 blgp:4// 000000005610: D3AC6000 00037BC0 D3AD8CB0 86C2B188
	v_mfma_scale_f32_16x16x128_f8f6f4 a[180:183], v[136:139], v[92:95], a[180:183], v192, v189 op_sel_hi:[0,0,0] cbsz:4 blgp:4// 000000005620: D3AC7000 00037BC0 D3AD8CB4 86D2B988
	ds_read_b128 v[8:11], v203                                 // 000000005630: D9FE0000 080000CB
	v_mfma_scale_f32_16x16x128_f8f6f4 a[184:187], v[140:143], v[88:91], a[184:187], v192, v189 op_sel_hi:[0,0,0] cbsz:4 blgp:4// 000000005638: D3AC6800 00037BC0 D3AD8CB8 86E2B18C
	v_mfma_scale_f32_16x16x128_f8f6f4 a[188:191], v[140:143], v[92:95], a[188:191], v192, v189 op_sel_hi:[0,0,0] cbsz:4 blgp:4// 000000005648: D3AC7800 00037BC0 D3AD8CBC 86F2B98C
	ds_read_b128 v[16:19], v203 offset:64                      // 000000005658: D9FE0040 100000CB
	v_mfma_scale_f32_16x16x128_f8f6f4 a[176:179], v[144:147], v[96:99], a[176:179], v192, v189 op_sel_hi:[0,0,0] cbsz:4 blgp:4// 000000005660: D3AC6000 18037BC0 D3AD8CB0 86C2C190
	v_mfma_scale_f32_16x16x128_f8f6f4 a[180:183], v[144:147], v[100:103], a[180:183], v192, v189 op_sel_hi:[0,0,0] cbsz:4 blgp:4// 000000005670: D3AC7000 18037BC0 D3AD8CB4 86D2C990
	ds_read_b128 v[12:15], v203 offset:512                     // 000000005680: D9FE0200 0C0000CB
	v_mfma_scale_f32_16x16x128_f8f6f4 a[184:187], v[148:151], v[96:99], a[184:187], v192, v189 op_sel_hi:[0,0,0] cbsz:4 blgp:4// 000000005688: D3AC6800 18037BC0 D3AD8CB8 86E2C194
	v_mfma_scale_f32_16x16x128_f8f6f4 a[188:191], v[148:151], v[100:103], a[188:191], v192, v189 op_sel_hi:[0,0,0] cbsz:4 blgp:4// 000000005698: D3AC7800 18037BC0 D3AD8CBC 86F2C994
	ds_read_b128 v[20:23], v203 offset:576                     // 0000000056A8: D9FE0240 140000CB
	ds_read_b32 v184, v206 offset:2048                         // 0000000056B0: D86C0800 B80000CE
	v_mfma_scale_f32_16x16x128_f8f6f4 a[208:211], v[136:139], v[104:107], a[208:211], v192, v190 op_sel_hi:[0,0,0] cbsz:4 blgp:4// 0000000056B8: D3AC6000 00037DC0 D3AD8CD0 8742D188
	v_mfma_scale_f32_16x16x128_f8f6f4 a[212:215], v[136:139], v[108:111], a[212:215], v192, v190 op_sel_hi:[0,0,0] cbsz:4 blgp:4// 0000000056C8: D3AC7000 00037DC0 D3AD8CD4 8752D988
	ds_read_b128 v[24:27], v203 offset:4224                    // 0000000056D8: D9FE1080 180000CB
	v_mfma_scale_f32_16x16x128_f8f6f4 a[216:219], v[140:143], v[104:107], a[216:219], v192, v190 op_sel_hi:[0,0,0] cbsz:4 blgp:4// 0000000056E0: D3AC6800 00037DC0 D3AD8CD8 8762D18C
	v_mfma_scale_f32_16x16x128_f8f6f4 a[220:223], v[140:143], v[108:111], a[220:223], v192, v190 op_sel_hi:[0,0,0] cbsz:4 blgp:4// 0000000056F0: D3AC7800 00037DC0 D3AD8CDC 8772D98C
	ds_read_b128 v[32:35], v203 offset:4288                    // 000000005700: D9FE10C0 200000CB
	v_mfma_scale_f32_16x16x128_f8f6f4 a[208:211], v[144:147], v[112:115], a[208:211], v192, v190 op_sel_hi:[0,0,0] cbsz:4 blgp:4// 000000005708: D3AC6000 18037DC0 D3AD8CD0 8742E190
	v_mfma_scale_f32_16x16x128_f8f6f4 a[212:215], v[144:147], v[116:119], a[212:215], v192, v190 op_sel_hi:[0,0,0] cbsz:4 blgp:4// 000000005718: D3AC7000 18037DC0 D3AD8CD4 8752E990
	ds_read_b128 v[28:31], v203 offset:4736                    // 000000005728: D9FE1280 1C0000CB
	v_mfma_scale_f32_16x16x128_f8f6f4 a[216:219], v[148:151], v[112:115], a[216:219], v192, v190 op_sel_hi:[0,0,0] cbsz:4 blgp:4// 000000005730: D3AC6800 18037DC0 D3AD8CD8 8762E194
	v_mfma_scale_f32_16x16x128_f8f6f4 a[220:223], v[148:151], v[116:119], a[220:223], v192, v190 op_sel_hi:[0,0,0] cbsz:4 blgp:4// 000000005740: D3AC7800 18037DC0 D3AD8CDC 8772E994
	ds_read_b128 v[36:39], v203 offset:4800                    // 000000005750: D9FE12C0 240000CB
	ds_read_b32 v185, v206 offset:2304                         // 000000005758: D86C0900 B90000CE
	s_cbranch_scc0 label_0D3D                                  // 000000005760: BF840264
	s_waitcnt vmcnt(19)                                        // 000000005764: BF8C4F73
	s_barrier                                                  // 000000005768: BF8A0000
	s_waitcnt lgkmcnt(5)                                       // 00000000576C: BF8CC57F
	v_mfma_scale_f32_16x16x128_f8f6f4 a[0:3], v[152:155], v[8:11], a[0:3], v193, v184 op_sel_hi:[0,0,0] cbsz:4 blgp:4// 000000005770: D3AC6000 000371C1 D3AD8C00 84021198
	buffer_load_dwordx4 v[136:139], v209, s[16:19], 0 offen    // 000000005780: E05C1000 800488D1
	v_mfma_scale_f32_16x16x128_f8f6f4 a[4:7], v[152:155], v[12:15], a[4:7], v193, v184 op_sel_hi:[0,0,0] cbsz:4 blgp:4// 000000005788: D3AC7000 000371C1 D3AD8C04 84121998
	ds_read_b128 v[40:43], v203 offset:8448                    // 000000005798: D9FE2100 280000CB
	v_mfma_scale_f32_16x16x128_f8f6f4 a[8:11], v[156:159], v[8:11], a[8:11], v193, v184 op_sel_hi:[0,0,0] cbsz:4 blgp:4// 0000000057A0: D3AC6800 000371C1 D3AD8C08 8422119C
	v_mfma_scale_f32_16x16x128_f8f6f4 a[12:15], v[156:159], v[12:15], a[12:15], v193, v184 op_sel_hi:[0,0,0] cbsz:4 blgp:4// 0000000057B0: D3AC7800 000371C1 D3AD8C0C 8432199C
	ds_read_b128 v[48:51], v203 offset:8512                    // 0000000057C0: D9FE2140 300000CB
	v_mfma_scale_f32_16x16x128_f8f6f4 a[0:3], v[160:163], v[16:19], a[0:3], v193, v184 op_sel_hi:[0,0,0] cbsz:4 blgp:4// 0000000057C8: D3AC6000 180371C1 D3AD8C00 840221A0
	buffer_load_dwordx4 v[140:143], v210, s[16:19], 0 offen    // 0000000057D8: E05C1000 80048CD2
	v_mfma_scale_f32_16x16x128_f8f6f4 a[4:7], v[160:163], v[20:23], a[4:7], v193, v184 op_sel_hi:[0,0,0] cbsz:4 blgp:4// 0000000057E0: D3AC7000 180371C1 D3AD8C04 841229A0
	ds_read_b128 v[44:47], v203 offset:8960                    // 0000000057F0: D9FE2300 2C0000CB
	v_mfma_scale_f32_16x16x128_f8f6f4 a[8:11], v[164:167], v[16:19], a[8:11], v193, v184 op_sel_hi:[0,0,0] cbsz:4 blgp:4// 0000000057F8: D3AC6800 180371C1 D3AD8C08 842221A4
	v_mfma_scale_f32_16x16x128_f8f6f4 a[12:15], v[164:167], v[20:23], a[12:15], v193, v184 op_sel_hi:[0,0,0] cbsz:4 blgp:4// 000000005808: D3AC7800 180371C1 D3AD8C0C 843229A4
	ds_read_b128 v[52:55], v203 offset:9024                    // 000000005818: D9FE2340 340000CB
	ds_read_b32 v186, v206 offset:2560                         // 000000005820: D86C0A00 BA0000CE
	s_waitcnt lgkmcnt(5)                                       // 000000005828: BF8CC57F
	v_mfma_scale_f32_16x16x128_f8f6f4 a[32:35], v[152:155], v[24:27], a[32:35], v193, v185 op_sel_hi:[0,0,0] cbsz:4 blgp:4// 00000000582C: D3AC6000 000373C1 D3AD8C20 84823198
	buffer_load_dwordx4 v[144:147], v209, s[16:19], 0 offen offset:1024// 00000000583C: E05C1400 800490D1
	v_mfma_scale_f32_16x16x128_f8f6f4 a[36:39], v[152:155], v[28:31], a[36:39], v193, v185 op_sel_hi:[0,0,0] cbsz:4 blgp:4// 000000005844: D3AC7000 000373C1 D3AD8C24 84923998
	ds_read_b128 v[56:59], v203 offset:12672                   // 000000005854: D9FE3180 380000CB
	v_mfma_scale_f32_16x16x128_f8f6f4 a[40:43], v[156:159], v[24:27], a[40:43], v193, v185 op_sel_hi:[0,0,0] cbsz:4 blgp:4// 00000000585C: D3AC6800 000373C1 D3AD8C28 84A2319C
	v_mfma_scale_f32_16x16x128_f8f6f4 a[44:47], v[156:159], v[28:31], a[44:47], v193, v185 op_sel_hi:[0,0,0] cbsz:4 blgp:4// 00000000586C: D3AC7800 000373C1 D3AD8C2C 84B2399C
	ds_read_b128 v[64:67], v203 offset:12736                   // 00000000587C: D9FE31C0 400000CB
	v_mfma_scale_f32_16x16x128_f8f6f4 a[32:35], v[160:163], v[32:35], a[32:35], v193, v185 op_sel_hi:[0,0,0] cbsz:4 blgp:4// 000000005884: D3AC6000 180373C1 D3AD8C20 848241A0
	buffer_load_dwordx4 v[148:151], v210, s[16:19], 0 offen offset:1024// 000000005894: E05C1400 800494D2
	v_mfma_scale_f32_16x16x128_f8f6f4 a[36:39], v[160:163], v[36:39], a[36:39], v193, v185 op_sel_hi:[0,0,0] cbsz:4 blgp:4// 00000000589C: D3AC7000 180373C1 D3AD8C24 849249A0
	ds_read_b128 v[60:63], v203 offset:13184                   // 0000000058AC: D9FE3380 3C0000CB
	v_mfma_scale_f32_16x16x128_f8f6f4 a[40:43], v[164:167], v[32:35], a[40:43], v193, v185 op_sel_hi:[0,0,0] cbsz:4 blgp:4// 0000000058B4: D3AC6800 180373C1 D3AD8C28 84A241A4
	v_mfma_scale_f32_16x16x128_f8f6f4 a[44:47], v[164:167], v[36:39], a[44:47], v193, v185 op_sel_hi:[0,0,0] cbsz:4 blgp:4// 0000000058C4: D3AC7800 180373C1 D3AD8C2C 84B249A4
	ds_read_b128 v[68:71], v203 offset:13248                   // 0000000058D4: D9FE33C0 440000CB
	ds_read_b32 v187, v206 offset:2816                         // 0000000058DC: D86C0B00 BB0000CE
	s_waitcnt lgkmcnt(5)                                       // 0000000058E4: BF8CC57F
	v_mfma_scale_f32_16x16x128_f8f6f4 a[64:67], v[152:155], v[40:43], a[64:67], v193, v186 op_sel_hi:[0,0,0] cbsz:4 blgp:4// 0000000058E8: D3AC6000 000375C1 D3AD8C40 85025198
	buffer_load_dword v192, v212, s[24:27], 0 offen            // 0000000058F8: E0501000 8006C0D4
	v_mfma_scale_f32_16x16x128_f8f6f4 a[68:71], v[152:155], v[44:47], a[68:71], v193, v186 op_sel_hi:[0,0,0] cbsz:4 blgp:4// 000000005900: D3AC7000 000375C1 D3AD8C44 85125998
	s_add_u32 s63, 0x200, s60                                  // 000000005910: 803F3CFF 00000200
	ds_read_b128 v[72:75], v203 offset:16896                   // 000000005918: D9FE4200 480000CB
	v_mfma_scale_f32_16x16x128_f8f6f4 a[72:75], v[156:159], v[40:43], a[72:75], v193, v186 op_sel_hi:[0,0,0] cbsz:4 blgp:4// 000000005920: D3AC6800 000375C1 D3AD8C48 8522519C
	s_cmp_lt_u32 s63, s61                                      // 000000005930: BF0A3D3F
	v_mfma_scale_f32_16x16x128_f8f6f4 a[76:79], v[156:159], v[44:47], a[76:79], v193, v186 op_sel_hi:[0,0,0] cbsz:4 blgp:4// 000000005934: D3AC7800 000375C1 D3AD8C4C 8532599C
	s_cselect_b32 s67, s67, 0                                  // 000000005944: 85438043
	ds_read_b128 v[80:83], v203 offset:16960                   // 000000005948: D9FE4240 500000CB
	v_mfma_scale_f32_16x16x128_f8f6f4 a[64:67], v[160:163], v[48:51], a[64:67], v193, v186 op_sel_hi:[0,0,0] cbsz:4 blgp:4// 000000005950: D3AC6000 180375C1 D3AD8C40 850261A0
	s_cselect_b32 s69, s69, 0                                  // 000000005960: 85458045
	v_mfma_scale_f32_16x16x128_f8f6f4 a[68:71], v[160:163], v[52:55], a[68:71], v193, v186 op_sel_hi:[0,0,0] cbsz:4 blgp:4// 000000005964: D3AC7000 180375C1 D3AD8C44 851269A0
	s_add_u32 s16, s16, s67                                    // 000000005974: 80104310
	ds_read_b128 v[76:79], v203 offset:17408                   // 000000005978: D9FE4400 4C0000CB
	v_mfma_scale_f32_16x16x128_f8f6f4 a[72:75], v[164:167], v[48:51], a[72:75], v193, v186 op_sel_hi:[0,0,0] cbsz:4 blgp:4// 000000005980: D3AC6800 180375C1 D3AD8C48 852261A4
	s_addc_u32 s17, 0, s17                                     // 000000005990: 82111180
	v_mfma_scale_f32_16x16x128_f8f6f4 a[76:79], v[164:167], v[52:55], a[76:79], v193, v186 op_sel_hi:[0,0,0] cbsz:4 blgp:4// 000000005994: D3AC7800 180375C1 D3AD8C4C 853269A4
	s_sub_u32 s18, s18, s67                                    // 0000000059A4: 80924312
	ds_read_b128 v[84:87], v203 offset:17472                   // 0000000059A8: D9FE4440 540000CB
	ds_read_b32 v188, v206 offset:3072                         // 0000000059B0: D86C0C00 BC0000CE
	s_waitcnt lgkmcnt(5)                                       // 0000000059B8: BF8CC57F
	v_mfma_scale_f32_16x16x128_f8f6f4 a[96:99], v[152:155], v[56:59], a[96:99], v193, v187 op_sel_hi:[0,0,0] cbsz:4 blgp:4// 0000000059BC: D3AC6000 000377C1 D3AD8C60 85827198
	s_add_u32 s24, s24, s69                                    // 0000000059CC: 80184518
	v_mfma_scale_f32_16x16x128_f8f6f4 a[100:103], v[152:155], v[60:63], a[100:103], v193, v187 op_sel_hi:[0,0,0] cbsz:4 blgp:4// 0000000059D0: D3AC7000 000377C1 D3AD8C64 85927998
	s_addc_u32 s25, 0, s25                                     // 0000000059E0: 82191980
	ds_read_b128 v[88:91], v203 offset:21120                   // 0000000059E4: D9FE5280 580000CB
	v_mfma_scale_f32_16x16x128_f8f6f4 a[104:107], v[156:159], v[56:59], a[104:107], v193, v187 op_sel_hi:[0,0,0] cbsz:4 blgp:4// 0000000059EC: D3AC6800 000377C1 D3AD8C68 85A2719C
	s_sub_u32 s26, s26, s69                                    // 0000000059FC: 809A451A
	v_mfma_scale_f32_16x16x128_f8f6f4 a[108:111], v[156:159], v[60:63], a[108:111], v193, v187 op_sel_hi:[0,0,0] cbsz:4 blgp:4// 000000005A00: D3AC7800 000377C1 D3AD8C6C 85B2799C
	ds_read_b128 v[96:99], v203 offset:21184                   // 000000005A10: D9FE52C0 600000CB
	v_mfma_scale_f32_16x16x128_f8f6f4 a[96:99], v[160:163], v[64:67], a[96:99], v193, v187 op_sel_hi:[0,0,0] cbsz:4 blgp:4// 000000005A18: D3AC6000 180377C1 D3AD8C60 858281A0
	v_mfma_scale_f32_16x16x128_f8f6f4 a[100:103], v[160:163], v[68:71], a[100:103], v193, v187 op_sel_hi:[0,0,0] cbsz:4 blgp:4// 000000005A28: D3AC7000 180377C1 D3AD8C64 859289A0
	ds_read_b128 v[92:95], v203 offset:21632                   // 000000005A38: D9FE5480 5C0000CB
	v_mfma_scale_f32_16x16x128_f8f6f4 a[104:107], v[164:167], v[64:67], a[104:107], v193, v187 op_sel_hi:[0,0,0] cbsz:4 blgp:4// 000000005A40: D3AC6800 180377C1 D3AD8C68 85A281A4
	v_mfma_scale_f32_16x16x128_f8f6f4 a[108:111], v[164:167], v[68:71], a[108:111], v193, v187 op_sel_hi:[0,0,0] cbsz:4 blgp:4// 000000005A50: D3AC7800 180377C1 D3AD8C6C 85B289A4
	ds_read_b128 v[100:103], v203 offset:21696                 // 000000005A60: D9FE54C0 640000CB
	ds_read_b32 v189, v206 offset:3328                         // 000000005A68: D86C0D00 BD0000CE
	s_waitcnt lgkmcnt(5)                                       // 000000005A70: BF8CC57F
	v_mfma_scale_f32_16x16x128_f8f6f4 a[128:131], v[152:155], v[72:75], a[128:131], v193, v188 op_sel_hi:[0,0,0] cbsz:4 blgp:4// 000000005A74: D3AC6000 000379C1 D3AD8C80 86029198
	v_mfma_scale_f32_16x16x128_f8f6f4 a[132:135], v[152:155], v[76:79], a[132:135], v193, v188 op_sel_hi:[0,0,0] cbsz:4 blgp:4// 000000005A84: D3AC7000 000379C1 D3AD8C84 86129998
	ds_read_b128 v[104:107], v203 offset:25344                 // 000000005A94: D9FE6300 680000CB
	v_mfma_scale_f32_16x16x128_f8f6f4 a[136:139], v[156:159], v[72:75], a[136:139], v193, v188 op_sel_hi:[0,0,0] cbsz:4 blgp:4// 000000005A9C: D3AC6800 000379C1 D3AD8C88 8622919C
	v_mfma_scale_f32_16x16x128_f8f6f4 a[140:143], v[156:159], v[76:79], a[140:143], v193, v188 op_sel_hi:[0,0,0] cbsz:4 blgp:4// 000000005AAC: D3AC7800 000379C1 D3AD8C8C 8632999C
	ds_read_b128 v[112:115], v203 offset:25408                 // 000000005ABC: D9FE6340 700000CB
	v_mfma_scale_f32_16x16x128_f8f6f4 a[128:131], v[160:163], v[80:83], a[128:131], v193, v188 op_sel_hi:[0,0,0] cbsz:4 blgp:4// 000000005AC4: D3AC6000 180379C1 D3AD8C80 8602A1A0
	v_mfma_scale_f32_16x16x128_f8f6f4 a[132:135], v[160:163], v[84:87], a[132:135], v193, v188 op_sel_hi:[0,0,0] cbsz:4 blgp:4// 000000005AD4: D3AC7000 180379C1 D3AD8C84 8612A9A0
	ds_read_b128 v[108:111], v203 offset:25856                 // 000000005AE4: D9FE6500 6C0000CB
	v_mfma_scale_f32_16x16x128_f8f6f4 a[136:139], v[164:167], v[80:83], a[136:139], v193, v188 op_sel_hi:[0,0,0] cbsz:4 blgp:4// 000000005AEC: D3AC6800 180379C1 D3AD8C88 8622A1A4
	v_mfma_scale_f32_16x16x128_f8f6f4 a[140:143], v[164:167], v[84:87], a[140:143], v193, v188 op_sel_hi:[0,0,0] cbsz:4 blgp:4// 000000005AFC: D3AC7800 180379C1 D3AD8C8C 8632A9A4
	ds_read_b128 v[116:119], v203 offset:25920                 // 000000005B0C: D9FE6540 740000CB
	ds_read_b32 v190, v206 offset:3584                         // 000000005B14: D86C0E00 BE0000CE
	s_barrier                                                  // 000000005B1C: BF8A0000
	s_waitcnt lgkmcnt(5)                                       // 000000005B20: BF8CC57F
	v_mfma_scale_f32_16x16x128_f8f6f4 a[160:163], v[152:155], v[88:91], a[160:163], v193, v189 op_sel_hi:[0,0,0] cbsz:4 blgp:4// 000000005B24: D3AC6000 00037BC1 D3AD8CA0 8682B198
	s_add_u32 m0, 0x800, s65                                   // 000000005B34: 807C41FF 00000800
	buffer_load_dword v204, s[20:23], 0 offen lds              // 000000005B3C: E0511000 800500CC
	v_mfma_scale_f32_16x16x128_f8f6f4 a[164:167], v[152:155], v[92:95], a[164:167], v193, v189 op_sel_hi:[0,0,0] cbsz:4 blgp:4// 000000005B44: D3AC7000 00037BC1 D3AD8CA4 8692B998
	v_mfma_scale_f32_16x16x128_f8f6f4 a[168:171], v[156:159], v[88:91], a[168:171], v193, v189 op_sel_hi:[0,0,0] cbsz:4 blgp:4// 000000005B54: D3AC6800 00037BC1 D3AD8CA8 86A2B19C
	v_mfma_scale_f32_16x16x128_f8f6f4 a[172:175], v[156:159], v[92:95], a[172:175], v193, v189 op_sel_hi:[0,0,0] cbsz:4 blgp:4// 000000005B64: D3AC7800 00037BC1 D3AD8CAC 86B2B99C
	v_mfma_scale_f32_16x16x128_f8f6f4 a[160:163], v[160:163], v[96:99], a[160:163], v193, v189 op_sel_hi:[0,0,0] cbsz:4 blgp:4// 000000005B74: D3AC6000 18037BC1 D3AD8CA0 8682C1A0
	s_add_u32 m0, 0xc00, s65                                   // 000000005B84: 807C41FF 00000C00
	buffer_load_dword v205, s[20:23], 0 offen lds              // 000000005B8C: E0511000 800500CD
	v_mfma_scale_f32_16x16x128_f8f6f4 a[164:167], v[160:163], v[100:103], a[164:167], v193, v189 op_sel_hi:[0,0,0] cbsz:4 blgp:4// 000000005B94: D3AC7000 18037BC1 D3AD8CA4 8692C9A0
	v_mfma_scale_f32_16x16x128_f8f6f4 a[168:171], v[164:167], v[96:99], a[168:171], v193, v189 op_sel_hi:[0,0,0] cbsz:4 blgp:4// 000000005BA4: D3AC6800 18037BC1 D3AD8CA8 86A2C1A4
	v_mfma_scale_f32_16x16x128_f8f6f4 a[172:175], v[164:167], v[100:103], a[172:175], v193, v189 op_sel_hi:[0,0,0] cbsz:4 blgp:4// 000000005BB4: D3AC7800 18037BC1 D3AD8CAC 86B2C9A4
	s_waitcnt lgkmcnt(0)                                       // 000000005BC4: BF8CC07F
	v_mfma_scale_f32_16x16x128_f8f6f4 a[192:195], v[152:155], v[104:107], a[192:195], v193, v190 op_sel_hi:[0,0,0] cbsz:4 blgp:4// 000000005BC8: D3AC6000 00037DC1 D3AD8CC0 8702D198
	s_add_u32 m0, 0x7380, s64                                  // 000000005BD8: 807C40FF 00007380
	buffer_load_dwordx4 v195, s[12:15], 0 offen lds            // 000000005BE0: E05D1000 800300C3
	v_mfma_scale_f32_16x16x128_f8f6f4 a[196:199], v[152:155], v[108:111], a[196:199], v193, v190 op_sel_hi:[0,0,0] cbsz:4 blgp:4// 000000005BE8: D3AC7000 00037DC1 D3AD8CC4 8712D998
	v_mfma_scale_f32_16x16x128_f8f6f4 a[200:203], v[156:159], v[104:107], a[200:203], v193, v190 op_sel_hi:[0,0,0] cbsz:4 blgp:4// 000000005BF8: D3AC6800 00037DC1 D3AD8CC8 8722D19C
	v_mfma_scale_f32_16x16x128_f8f6f4 a[204:207], v[156:159], v[108:111], a[204:207], v193, v190 op_sel_hi:[0,0,0] cbsz:4 blgp:4// 000000005C08: D3AC7800 00037DC1 D3AD8CCC 8732D99C
	v_mfma_scale_f32_16x16x128_f8f6f4 a[192:195], v[160:163], v[112:115], a[192:195], v193, v190 op_sel_hi:[0,0,0] cbsz:4 blgp:4// 000000005C18: D3AC6000 18037DC1 D3AD8CC0 8702E1A0
	s_add_u32 m0, 0x8400, s64                                  // 000000005C28: 807C40FF 00008400
	buffer_load_dwordx4 v196, s[12:15], 0 offen lds            // 000000005C30: E05D1000 800300C4
	v_mfma_scale_f32_16x16x128_f8f6f4 a[196:199], v[160:163], v[116:119], a[196:199], v193, v190 op_sel_hi:[0,0,0] cbsz:4 blgp:4// 000000005C38: D3AC7000 18037DC1 D3AD8CC4 8712E9A0
	v_mfma_scale_f32_16x16x128_f8f6f4 a[200:203], v[164:167], v[112:115], a[200:203], v193, v190 op_sel_hi:[0,0,0] cbsz:4 blgp:4// 000000005C48: D3AC6800 18037DC1 D3AD8CC8 8722E1A4
	v_mfma_scale_f32_16x16x128_f8f6f4 a[204:207], v[164:167], v[116:119], a[204:207], v193, v190 op_sel_hi:[0,0,0] cbsz:4 blgp:4// 000000005C58: D3AC7800 18037DC1 D3AD8CCC 8732E9A4
	s_waitcnt vmcnt(19)                                        // 000000005C68: BF8C4F73
	s_barrier                                                  // 000000005C6C: BF8A0000
	v_mfma_scale_f32_16x16x128_f8f6f4 a[16:19], v[168:171], v[8:11], a[16:19], v194, v184 op_sel_hi:[0,0,0] cbsz:4 blgp:4// 000000005C70: D3AC6000 000371C2 D3AD8C10 844211A8
	s_add_u32 m0, 0x9480, s64                                  // 000000005C80: 807C40FF 00009480
	buffer_load_dwordx4 v197, s[12:15], 0 offen lds            // 000000005C88: E05D1000 800300C5
	v_mfma_scale_f32_16x16x128_f8f6f4 a[20:23], v[168:171], v[12:15], a[20:23], v194, v184 op_sel_hi:[0,0,0] cbsz:4 blgp:4// 000000005C90: D3AC7000 000371C2 D3AD8C14 845219A8
	v_mfma_scale_f32_16x16x128_f8f6f4 a[24:27], v[172:175], v[8:11], a[24:27], v194, v184 op_sel_hi:[0,0,0] cbsz:4 blgp:4// 000000005CA0: D3AC6800 000371C2 D3AD8C18 846211AC
	v_mfma_scale_f32_16x16x128_f8f6f4 a[28:31], v[172:175], v[12:15], a[28:31], v194, v184 op_sel_hi:[0,0,0] cbsz:4 blgp:4// 000000005CB0: D3AC7800 000371C2 D3AD8C1C 847219AC
	v_mfma_scale_f32_16x16x128_f8f6f4 a[16:19], v[176:179], v[16:19], a[16:19], v194, v184 op_sel_hi:[0,0,0] cbsz:4 blgp:4// 000000005CC0: D3AC6000 180371C2 D3AD8C10 844221B0
	s_add_u32 m0, 0xa500, s64                                  // 000000005CD0: 807C40FF 0000A500
	buffer_load_dwordx4 v198, s[12:15], 0 offen lds            // 000000005CD8: E05D1000 800300C6
	v_mfma_scale_f32_16x16x128_f8f6f4 a[20:23], v[176:179], v[20:23], a[20:23], v194, v184 op_sel_hi:[0,0,0] cbsz:4 blgp:4// 000000005CE0: D3AC7000 180371C2 D3AD8C14 845229B0
	v_mfma_scale_f32_16x16x128_f8f6f4 a[24:27], v[180:183], v[16:19], a[24:27], v194, v184 op_sel_hi:[0,0,0] cbsz:4 blgp:4// 000000005CF0: D3AC6800 180371C2 D3AD8C18 846221B4
	v_mfma_scale_f32_16x16x128_f8f6f4 a[28:31], v[180:183], v[20:23], a[28:31], v194, v184 op_sel_hi:[0,0,0] cbsz:4 blgp:4// 000000005D00: D3AC7800 180371C2 D3AD8C1C 847229B4
	v_mfma_scale_f32_16x16x128_f8f6f4 a[48:51], v[168:171], v[24:27], a[48:51], v194, v185 op_sel_hi:[0,0,0] cbsz:4 blgp:4// 000000005D10: D3AC6000 000373C2 D3AD8C30 84C231A8
	s_add_u32 m0, 0xb580, s64                                  // 000000005D20: 807C40FF 0000B580
	buffer_load_dwordx4 v199, s[12:15], 0 offen lds            // 000000005D28: E05D1000 800300C7
	v_mfma_scale_f32_16x16x128_f8f6f4 a[52:55], v[168:171], v[28:31], a[52:55], v194, v185 op_sel_hi:[0,0,0] cbsz:4 blgp:4// 000000005D30: D3AC7000 000373C2 D3AD8C34 84D239A8
	v_mfma_scale_f32_16x16x128_f8f6f4 a[56:59], v[172:175], v[24:27], a[56:59], v194, v185 op_sel_hi:[0,0,0] cbsz:4 blgp:4// 000000005D40: D3AC6800 000373C2 D3AD8C38 84E231AC
	v_mfma_scale_f32_16x16x128_f8f6f4 a[60:63], v[172:175], v[28:31], a[60:63], v194, v185 op_sel_hi:[0,0,0] cbsz:4 blgp:4// 000000005D50: D3AC7800 000373C2 D3AD8C3C 84F239AC
	v_mfma_scale_f32_16x16x128_f8f6f4 a[48:51], v[176:179], v[32:35], a[48:51], v194, v185 op_sel_hi:[0,0,0] cbsz:4 blgp:4// 000000005D60: D3AC6000 180373C2 D3AD8C30 84C241B0
	s_add_u32 m0, 0xc600, s64                                  // 000000005D70: 807C40FF 0000C600
	buffer_load_dwordx4 v200, s[12:15], 0 offen lds            // 000000005D78: E05D1000 800300C8
	v_mfma_scale_f32_16x16x128_f8f6f4 a[52:55], v[176:179], v[36:39], a[52:55], v194, v185 op_sel_hi:[0,0,0] cbsz:4 blgp:4// 000000005D80: D3AC7000 180373C2 D3AD8C34 84D249B0
	v_mfma_scale_f32_16x16x128_f8f6f4 a[56:59], v[180:183], v[32:35], a[56:59], v194, v185 op_sel_hi:[0,0,0] cbsz:4 blgp:4// 000000005D90: D3AC6800 180373C2 D3AD8C38 84E241B4
	v_mfma_scale_f32_16x16x128_f8f6f4 a[60:63], v[180:183], v[36:39], a[60:63], v194, v185 op_sel_hi:[0,0,0] cbsz:4 blgp:4// 000000005DA0: D3AC7800 180373C2 D3AD8C3C 84F249B4
	v_mfma_scale_f32_16x16x128_f8f6f4 a[80:83], v[168:171], v[40:43], a[80:83], v194, v186 op_sel_hi:[0,0,0] cbsz:4 blgp:4// 000000005DB0: D3AC6000 000375C2 D3AD8C50 854251A8
	s_add_u32 m0, 0xd680, s64                                  // 000000005DC0: 807C40FF 0000D680
	buffer_load_dwordx4 v201, s[12:15], 0 offen lds            // 000000005DC8: E05D1000 800300C9
	v_mfma_scale_f32_16x16x128_f8f6f4 a[84:87], v[168:171], v[44:47], a[84:87], v194, v186 op_sel_hi:[0,0,0] cbsz:4 blgp:4// 000000005DD0: D3AC7000 000375C2 D3AD8C54 855259A8
	s_add_u32 s62, 0x300, s60                                  // 000000005DE0: 803E3CFF 00000300
	v_mfma_scale_f32_16x16x128_f8f6f4 a[88:91], v[172:175], v[40:43], a[88:91], v194, v186 op_sel_hi:[0,0,0] cbsz:4 blgp:4// 000000005DE8: D3AC6800 000375C2 D3AD8C58 856251AC
	s_cmp_lt_u32 s62, s61                                      // 000000005DF8: BF0A3D3E
	v_mfma_scale_f32_16x16x128_f8f6f4 a[92:95], v[172:175], v[44:47], a[92:95], v194, v186 op_sel_hi:[0,0,0] cbsz:4 blgp:4// 000000005DFC: D3AC7800 000375C2 D3AD8C5C 857259AC
	s_cselect_b32 s66, s66, 0                                  // 000000005E0C: 85428042
	v_mfma_scale_f32_16x16x128_f8f6f4 a[80:83], v[176:179], v[48:51], a[80:83], v194, v186 op_sel_hi:[0,0,0] cbsz:4 blgp:4// 000000005E10: D3AC6000 180375C2 D3AD8C50 854261B0
	s_cselect_b32 s68, s68, 0                                  // 000000005E20: 85448044
	buffer_load_dwordx4 v[152:155], v207, s[16:19], 0 offen    // 000000005E24: E05C1000 800498CF
	v_mfma_scale_f32_16x16x128_f8f6f4 a[84:87], v[176:179], v[52:55], a[84:87], v194, v186 op_sel_hi:[0,0,0] cbsz:4 blgp:4// 000000005E2C: D3AC7000 180375C2 D3AD8C54 855269B0
	s_add_u32 s12, s12, s66                                    // 000000005E3C: 800C420C
	v_mfma_scale_f32_16x16x128_f8f6f4 a[88:91], v[180:183], v[48:51], a[88:91], v194, v186 op_sel_hi:[0,0,0] cbsz:4 blgp:4// 000000005E40: D3AC6800 180375C2 D3AD8C58 856261B4
	s_addc_u32 s13, 0, s13                                     // 000000005E50: 820D0D80
	v_mfma_scale_f32_16x16x128_f8f6f4 a[92:95], v[180:183], v[52:55], a[92:95], v194, v186 op_sel_hi:[0,0,0] cbsz:4 blgp:4// 000000005E54: D3AC7800 180375C2 D3AD8C5C 857269B4
	s_sub_u32 s14, s14, s66                                    // 000000005E64: 808E420E
	v_mfma_scale_f32_16x16x128_f8f6f4 a[112:115], v[168:171], v[56:59], a[112:115], v194, v187 op_sel_hi:[0,0,0] cbsz:4 blgp:4// 000000005E68: D3AC6000 000377C2 D3AD8C70 85C271A8
	s_add_u32 s20, s20, s68                                    // 000000005E78: 80144414
	buffer_load_dwordx4 v[156:159], v208, s[16:19], 0 offen    // 000000005E7C: E05C1000 80049CD0
	v_mfma_scale_f32_16x16x128_f8f6f4 a[116:119], v[168:171], v[60:63], a[116:119], v194, v187 op_sel_hi:[0,0,0] cbsz:4 blgp:4// 000000005E84: D3AC7000 000377C2 D3AD8C74 85D279A8
	s_addc_u32 s21, 0, s21                                     // 000000005E94: 82151580
	v_mfma_scale_f32_16x16x128_f8f6f4 a[120:123], v[172:175], v[56:59], a[120:123], v194, v187 op_sel_hi:[0,0,0] cbsz:4 blgp:4// 000000005E98: D3AC6800 000377C2 D3AD8C78 85E271AC
	s_sub_u32 s22, s22, s68                                    // 000000005EA8: 80964416
	v_mfma_scale_f32_16x16x128_f8f6f4 a[124:127], v[172:175], v[60:63], a[124:127], v194, v187 op_sel_hi:[0,0,0] cbsz:4 blgp:4// 000000005EAC: D3AC7800 000377C2 D3AD8C7C 85F279AC
	s_addk_i32 s60, 0x100                                      // 000000005EBC: B73C0100
	v_mfma_scale_f32_16x16x128_f8f6f4 a[112:115], v[176:179], v[64:67], a[112:115], v194, v187 op_sel_hi:[0,0,0] cbsz:4 blgp:4// 000000005EC0: D3AC6000 180377C2 D3AD8C70 85C281B0
	s_cmp_lt_i32 s60, s61                                      // 000000005ED0: BF043D3C
	buffer_load_dwordx4 v[160:163], v207, s[16:19], 0 offen offset:1024// 000000005ED4: E05C1400 8004A0CF
	v_mfma_scale_f32_16x16x128_f8f6f4 a[116:119], v[176:179], v[68:71], a[116:119], v194, v187 op_sel_hi:[0,0,0] cbsz:4 blgp:4// 000000005EDC: D3AC7000 180377C2 D3AD8C74 85D289B0
	v_mfma_scale_f32_16x16x128_f8f6f4 a[120:123], v[180:183], v[64:67], a[120:123], v194, v187 op_sel_hi:[0,0,0] cbsz:4 blgp:4// 000000005EEC: D3AC6800 180377C2 D3AD8C78 85E281B4
	v_mfma_scale_f32_16x16x128_f8f6f4 a[124:127], v[180:183], v[68:71], a[124:127], v194, v187 op_sel_hi:[0,0,0] cbsz:4 blgp:4// 000000005EFC: D3AC7800 180377C2 D3AD8C7C 85F289B4
	v_mfma_scale_f32_16x16x128_f8f6f4 a[144:147], v[168:171], v[72:75], a[144:147], v194, v188 op_sel_hi:[0,0,0] cbsz:4 blgp:4// 000000005F0C: D3AC6000 000379C2 D3AD8C90 864291A8
	buffer_load_dwordx4 v[164:167], v208, s[16:19], 0 offen offset:1024// 000000005F1C: E05C1400 8004A4D0
	v_mfma_scale_f32_16x16x128_f8f6f4 a[148:151], v[168:171], v[76:79], a[148:151], v194, v188 op_sel_hi:[0,0,0] cbsz:4 blgp:4// 000000005F24: D3AC7000 000379C2 D3AD8C94 865299A8
	v_mfma_scale_f32_16x16x128_f8f6f4 a[152:155], v[172:175], v[72:75], a[152:155], v194, v188 op_sel_hi:[0,0,0] cbsz:4 blgp:4// 000000005F34: D3AC6800 000379C2 D3AD8C98 866291AC
	v_mfma_scale_f32_16x16x128_f8f6f4 a[156:159], v[172:175], v[76:79], a[156:159], v194, v188 op_sel_hi:[0,0,0] cbsz:4 blgp:4// 000000005F44: D3AC7800 000379C2 D3AD8C9C 867299AC
	v_mfma_scale_f32_16x16x128_f8f6f4 a[144:147], v[176:179], v[80:83], a[144:147], v194, v188 op_sel_hi:[0,0,0] cbsz:4 blgp:4// 000000005F54: D3AC6000 180379C2 D3AD8C90 8642A1B0
	buffer_load_dword v193, v211, s[24:27], 0 offen            // 000000005F64: E0501000 8006C1D3
	v_mfma_scale_f32_16x16x128_f8f6f4 a[148:151], v[176:179], v[84:87], a[148:151], v194, v188 op_sel_hi:[0,0,0] cbsz:4 blgp:4// 000000005F6C: D3AC7000 180379C2 D3AD8C94 8652A9B0
	v_mfma_scale_f32_16x16x128_f8f6f4 a[152:155], v[180:183], v[80:83], a[152:155], v194, v188 op_sel_hi:[0,0,0] cbsz:4 blgp:4// 000000005F7C: D3AC6800 180379C2 D3AD8C98 8662A1B4
	v_mfma_scale_f32_16x16x128_f8f6f4 a[156:159], v[180:183], v[84:87], a[156:159], v194, v188 op_sel_hi:[0,0,0] cbsz:4 blgp:4// 000000005F8C: D3AC7800 180379C2 D3AD8C9C 8672A9B4
	v_mfma_scale_f32_16x16x128_f8f6f4 a[176:179], v[168:171], v[88:91], a[176:179], v194, v189 op_sel_hi:[0,0,0] cbsz:4 blgp:4// 000000005F9C: D3AC6000 00037BC2 D3AD8CB0 86C2B1A8
	v_mfma_scale_f32_16x16x128_f8f6f4 a[180:183], v[168:171], v[92:95], a[180:183], v194, v189 op_sel_hi:[0,0,0] cbsz:4 blgp:4// 000000005FAC: D3AC7000 00037BC2 D3AD8CB4 86D2B9A8
	ds_read_b128 v[8:11], v202                                 // 000000005FBC: D9FE0000 080000CA
	v_mfma_scale_f32_16x16x128_f8f6f4 a[184:187], v[172:175], v[88:91], a[184:187], v194, v189 op_sel_hi:[0,0,0] cbsz:4 blgp:4// 000000005FC4: D3AC6800 00037BC2 D3AD8CB8 86E2B1AC
	v_mfma_scale_f32_16x16x128_f8f6f4 a[188:191], v[172:175], v[92:95], a[188:191], v194, v189 op_sel_hi:[0,0,0] cbsz:4 blgp:4// 000000005FD4: D3AC7800 00037BC2 D3AD8CBC 86F2B9AC
	ds_read_b128 v[16:19], v202 offset:64                      // 000000005FE4: D9FE0040 100000CA
	v_mfma_scale_f32_16x16x128_f8f6f4 a[176:179], v[176:179], v[96:99], a[176:179], v194, v189 op_sel_hi:[0,0,0] cbsz:4 blgp:4// 000000005FEC: D3AC6000 18037BC2 D3AD8CB0 86C2C1B0
	v_mfma_scale_f32_16x16x128_f8f6f4 a[180:183], v[176:179], v[100:103], a[180:183], v194, v189 op_sel_hi:[0,0,0] cbsz:4 blgp:4// 000000005FFC: D3AC7000 18037BC2 D3AD8CB4 86D2C9B0
	ds_read_b128 v[12:15], v202 offset:512                     // 00000000600C: D9FE0200 0C0000CA
	v_mfma_scale_f32_16x16x128_f8f6f4 a[184:187], v[180:183], v[96:99], a[184:187], v194, v189 op_sel_hi:[0,0,0] cbsz:4 blgp:4// 000000006014: D3AC6800 18037BC2 D3AD8CB8 86E2C1B4
	v_mfma_scale_f32_16x16x128_f8f6f4 a[188:191], v[180:183], v[100:103], a[188:191], v194, v189 op_sel_hi:[0,0,0] cbsz:4 blgp:4// 000000006024: D3AC7800 18037BC2 D3AD8CBC 86F2C9B4
	ds_read_b128 v[20:23], v202 offset:576                     // 000000006034: D9FE0240 140000CA
	ds_read_b32 v184, v206                                     // 00000000603C: D86C0000 B80000CE
	v_mfma_scale_f32_16x16x128_f8f6f4 a[208:211], v[168:171], v[104:107], a[208:211], v194, v190 op_sel_hi:[0,0,0] cbsz:4 blgp:4// 000000006044: D3AC6000 00037DC2 D3AD8CD0 8742D1A8
	v_mfma_scale_f32_16x16x128_f8f6f4 a[212:215], v[168:171], v[108:111], a[212:215], v194, v190 op_sel_hi:[0,0,0] cbsz:4 blgp:4// 000000006054: D3AC7000 00037DC2 D3AD8CD4 8752D9A8
	ds_read_b128 v[24:27], v202 offset:4224                    // 000000006064: D9FE1080 180000CA
	v_mfma_scale_f32_16x16x128_f8f6f4 a[216:219], v[172:175], v[104:107], a[216:219], v194, v190 op_sel_hi:[0,0,0] cbsz:4 blgp:4// 00000000606C: D3AC6800 00037DC2 D3AD8CD8 8762D1AC
	v_mfma_scale_f32_16x16x128_f8f6f4 a[220:223], v[172:175], v[108:111], a[220:223], v194, v190 op_sel_hi:[0,0,0] cbsz:4 blgp:4// 00000000607C: D3AC7800 00037DC2 D3AD8CDC 8772D9AC
	ds_read_b128 v[32:35], v202 offset:4288                    // 00000000608C: D9FE10C0 200000CA
	v_mfma_scale_f32_16x16x128_f8f6f4 a[208:211], v[176:179], v[112:115], a[208:211], v194, v190 op_sel_hi:[0,0,0] cbsz:4 blgp:4// 000000006094: D3AC6000 18037DC2 D3AD8CD0 8742E1B0
	v_mfma_scale_f32_16x16x128_f8f6f4 a[212:215], v[176:179], v[116:119], a[212:215], v194, v190 op_sel_hi:[0,0,0] cbsz:4 blgp:4// 0000000060A4: D3AC7000 18037DC2 D3AD8CD4 8752E9B0
	ds_read_b128 v[28:31], v202 offset:4736                    // 0000000060B4: D9FE1280 1C0000CA
	v_mfma_scale_f32_16x16x128_f8f6f4 a[216:219], v[180:183], v[112:115], a[216:219], v194, v190 op_sel_hi:[0,0,0] cbsz:4 blgp:4// 0000000060BC: D3AC6800 18037DC2 D3AD8CD8 8762E1B4
	v_mfma_scale_f32_16x16x128_f8f6f4 a[220:223], v[180:183], v[116:119], a[220:223], v194, v190 op_sel_hi:[0,0,0] cbsz:4 blgp:4// 0000000060CC: D3AC7800 18037DC2 D3AD8CDC 8772E9B4
	ds_read_b128 v[36:39], v202 offset:4800                    // 0000000060DC: D9FE12C0 240000CA
	ds_read_b32 v185, v206 offset:256                          // 0000000060E4: D86C0100 B90000CE
	s_cbranch_scc0 label_0D3D                                  // 0000000060EC: BF840001
	s_branch label_0878                                        // 0000000060F0: BF82FB3B

00000000000060f4 <label_0D3D>:
	s_waitcnt vmcnt(0) expcnt(0) lgkmcnt(0)                    // 0000000060F4: BF8C0000
	s_barrier                                                  // 0000000060F8: BF8A0000
	v_lshrrev_b32_e32 v4, 5, v0                                // 0000000060FC: 20080085
	v_mul_i32_i24_e32 v4, 16, v4                               // 000000006100: 0C080890
	v_lshrrev_b32_e32 v5, 4, v0                                // 000000006104: 200A0084
	v_and_b32_e32 v5, 1, v5                                    // 000000006108: 260A0A81
	v_mul_i32_i24_e32 v5, 32, v5                               // 00000000610C: 0C0A0AA0
	v_add_u32_e32 v4, v4, v5                                   // 000000006110: 68080B04
	v_and_b32_e32 v5, 15, v0                                   // 000000006114: 260A008F
	v_mul_i32_i24_e32 v5, 0x80, v5                             // 000000006118: 0C0A0AFF 00000080
	v_add_u32_e32 v4, v4, v5                                   // 000000006120: 68080B04
	s_mul_i32 s62, s46, 0x7000                                 // 000000006124: 923EFF2E 00007000
	s_add_i32 s62, s62, 0                                      // 00000000612C: 813E803E
	v_add_i32 v4, v4, s62                                      // 000000006130: D29C0004 00007D04
	v_accvgpr_read_b32 v8, a0                                  // 000000006138: D3D84008 18000100
	v_accvgpr_read_b32 v9, a1                                  // 000000006140: D3D84009 18000101
	v_accvgpr_read_b32 v10, a2                                 // 000000006148: D3D8400A 18000102
	v_accvgpr_read_b32 v11, a3                                 // 000000006150: D3D8400B 18000103
	v_accvgpr_read_b32 v12, a8                                 // 000000006158: D3D8400C 18000108
	v_accvgpr_read_b32 v13, a9                                 // 000000006160: D3D8400D 18000109
	v_accvgpr_read_b32 v14, a10                                // 000000006168: D3D8400E 1800010A
	v_accvgpr_read_b32 v15, a11                                // 000000006170: D3D8400F 1800010B
	v_cvt_pk_bf16_f32 v16, v8, v9                              // 000000006178: D2680010 00021308
	v_cvt_pk_bf16_f32 v17, v10, v11                            // 000000006180: D2680011 0002170A
	v_cvt_pk_bf16_f32 v18, v12, v13                            // 000000006188: D2680012 00021B0C
	v_cvt_pk_bf16_f32 v19, v14, v15                            // 000000006190: D2680013 00021F0E
	s_nop 1                                                    // 000000006198: BF800001
	v_permlane16_swap_b32_e32 v16, v18                         // 00000000619C: 7E20B312
	s_nop 1                                                    // 0000000061A0: BF800001
	v_permlane16_swap_b32_e32 v17, v19                         // 0000000061A4: 7E22B313
	s_nop 1                                                    // 0000000061A8: BF800001
	ds_write_b128 v4, v[16:19]                                 // 0000000061AC: D9BE0000 00001004
	v_accvgpr_read_b32 v8, a16                                 // 0000000061B4: D3D84008 18000110
	v_accvgpr_read_b32 v9, a17                                 // 0000000061BC: D3D84009 18000111
	v_accvgpr_read_b32 v10, a18                                // 0000000061C4: D3D8400A 18000112
	v_accvgpr_read_b32 v11, a19                                // 0000000061CC: D3D8400B 18000113
	v_accvgpr_read_b32 v12, a24                                // 0000000061D4: D3D8400C 18000118
	v_accvgpr_read_b32 v13, a25                                // 0000000061DC: D3D8400D 18000119
	v_accvgpr_read_b32 v14, a26                                // 0000000061E4: D3D8400E 1800011A
	v_accvgpr_read_b32 v15, a27                                // 0000000061EC: D3D8400F 1800011B
	v_cvt_pk_bf16_f32 v16, v8, v9                              // 0000000061F4: D2680010 00021308
	v_cvt_pk_bf16_f32 v17, v10, v11                            // 0000000061FC: D2680011 0002170A
	v_cvt_pk_bf16_f32 v18, v12, v13                            // 000000006204: D2680012 00021B0C
	v_cvt_pk_bf16_f32 v19, v14, v15                            // 00000000620C: D2680013 00021F0E
	s_nop 1                                                    // 000000006214: BF800001
	v_permlane16_swap_b32_e32 v16, v18                         // 000000006218: 7E20B312
	s_nop 1                                                    // 00000000621C: BF800001
	v_permlane16_swap_b32_e32 v17, v19                         // 000000006220: 7E22B313
	s_nop 1                                                    // 000000006224: BF800001
	ds_write_b128 v4, v[16:19] offset:64                       // 000000006228: D9BE0040 00001004
	v_accvgpr_read_b32 v8, a4                                  // 000000006230: D3D84008 18000104
	v_accvgpr_read_b32 v9, a5                                  // 000000006238: D3D84009 18000105
	v_accvgpr_read_b32 v10, a6                                 // 000000006240: D3D8400A 18000106
	v_accvgpr_read_b32 v11, a7                                 // 000000006248: D3D8400B 18000107
	v_accvgpr_read_b32 v12, a12                                // 000000006250: D3D8400C 1800010C
	v_accvgpr_read_b32 v13, a13                                // 000000006258: D3D8400D 1800010D
	v_accvgpr_read_b32 v14, a14                                // 000000006260: D3D8400E 1800010E
	v_accvgpr_read_b32 v15, a15                                // 000000006268: D3D8400F 1800010F
	v_cvt_pk_bf16_f32 v16, v8, v9                              // 000000006270: D2680010 00021308
	v_cvt_pk_bf16_f32 v17, v10, v11                            // 000000006278: D2680011 0002170A
	v_cvt_pk_bf16_f32 v18, v12, v13                            // 000000006280: D2680012 00021B0C
	v_cvt_pk_bf16_f32 v19, v14, v15                            // 000000006288: D2680013 00021F0E
	s_nop 1                                                    // 000000006290: BF800001
	v_permlane16_swap_b32_e32 v16, v18                         // 000000006294: 7E20B312
	s_nop 1                                                    // 000000006298: BF800001
	v_permlane16_swap_b32_e32 v17, v19                         // 00000000629C: 7E22B313
	s_nop 1                                                    // 0000000062A0: BF800001
	ds_write_b128 v4, v[16:19] offset:2048                     // 0000000062A4: D9BE0800 00001004
	v_accvgpr_read_b32 v8, a20                                 // 0000000062AC: D3D84008 18000114
	v_accvgpr_read_b32 v9, a21                                 // 0000000062B4: D3D84009 18000115
	v_accvgpr_read_b32 v10, a22                                // 0000000062BC: D3D8400A 18000116
	v_accvgpr_read_b32 v11, a23                                // 0000000062C4: D3D8400B 18000117
	v_accvgpr_read_b32 v12, a28                                // 0000000062CC: D3D8400C 1800011C
	v_accvgpr_read_b32 v13, a29                                // 0000000062D4: D3D8400D 1800011D
	v_accvgpr_read_b32 v14, a30                                // 0000000062DC: D3D8400E 1800011E
	v_accvgpr_read_b32 v15, a31                                // 0000000062E4: D3D8400F 1800011F
	v_cvt_pk_bf16_f32 v16, v8, v9                              // 0000000062EC: D2680010 00021308
	v_cvt_pk_bf16_f32 v17, v10, v11                            // 0000000062F4: D2680011 0002170A
	v_cvt_pk_bf16_f32 v18, v12, v13                            // 0000000062FC: D2680012 00021B0C
	v_cvt_pk_bf16_f32 v19, v14, v15                            // 000000006304: D2680013 00021F0E
	s_nop 1                                                    // 00000000630C: BF800001
	v_permlane16_swap_b32_e32 v16, v18                         // 000000006310: 7E20B312
	s_nop 1                                                    // 000000006314: BF800001
	v_permlane16_swap_b32_e32 v17, v19                         // 000000006318: 7E22B313
	s_nop 1                                                    // 00000000631C: BF800001
	ds_write_b128 v4, v[16:19] offset:2112                     // 000000006320: D9BE0840 00001004
	v_accvgpr_read_b32 v8, a32                                 // 000000006328: D3D84008 18000120
	v_accvgpr_read_b32 v9, a33                                 // 000000006330: D3D84009 18000121
	v_accvgpr_read_b32 v10, a34                                // 000000006338: D3D8400A 18000122
	v_accvgpr_read_b32 v11, a35                                // 000000006340: D3D8400B 18000123
	v_accvgpr_read_b32 v12, a40                                // 000000006348: D3D8400C 18000128
	v_accvgpr_read_b32 v13, a41                                // 000000006350: D3D8400D 18000129
	v_accvgpr_read_b32 v14, a42                                // 000000006358: D3D8400E 1800012A
	v_accvgpr_read_b32 v15, a43                                // 000000006360: D3D8400F 1800012B
	v_cvt_pk_bf16_f32 v16, v8, v9                              // 000000006368: D2680010 00021308
	v_cvt_pk_bf16_f32 v17, v10, v11                            // 000000006370: D2680011 0002170A
	v_cvt_pk_bf16_f32 v18, v12, v13                            // 000000006378: D2680012 00021B0C
	v_cvt_pk_bf16_f32 v19, v14, v15                            // 000000006380: D2680013 00021F0E
	s_nop 1                                                    // 000000006388: BF800001
	v_permlane16_swap_b32_e32 v16, v18                         // 00000000638C: 7E20B312
	s_nop 1                                                    // 000000006390: BF800001
	v_permlane16_swap_b32_e32 v17, v19                         // 000000006394: 7E22B313
	s_nop 1                                                    // 000000006398: BF800001
	ds_write_b128 v4, v[16:19] offset:4096                     // 00000000639C: D9BE1000 00001004
	v_accvgpr_read_b32 v8, a48                                 // 0000000063A4: D3D84008 18000130
	v_accvgpr_read_b32 v9, a49                                 // 0000000063AC: D3D84009 18000131
	v_accvgpr_read_b32 v10, a50                                // 0000000063B4: D3D8400A 18000132
	v_accvgpr_read_b32 v11, a51                                // 0000000063BC: D3D8400B 18000133
	v_accvgpr_read_b32 v12, a56                                // 0000000063C4: D3D8400C 18000138
	v_accvgpr_read_b32 v13, a57                                // 0000000063CC: D3D8400D 18000139
	v_accvgpr_read_b32 v14, a58                                // 0000000063D4: D3D8400E 1800013A
	v_accvgpr_read_b32 v15, a59                                // 0000000063DC: D3D8400F 1800013B
	v_cvt_pk_bf16_f32 v16, v8, v9                              // 0000000063E4: D2680010 00021308
	v_cvt_pk_bf16_f32 v17, v10, v11                            // 0000000063EC: D2680011 0002170A
	v_cvt_pk_bf16_f32 v18, v12, v13                            // 0000000063F4: D2680012 00021B0C
	v_cvt_pk_bf16_f32 v19, v14, v15                            // 0000000063FC: D2680013 00021F0E
	s_nop 1                                                    // 000000006404: BF800001
	v_permlane16_swap_b32_e32 v16, v18                         // 000000006408: 7E20B312
	s_nop 1                                                    // 00000000640C: BF800001
	v_permlane16_swap_b32_e32 v17, v19                         // 000000006410: 7E22B313
	s_nop 1                                                    // 000000006414: BF800001
	ds_write_b128 v4, v[16:19] offset:4160                     // 000000006418: D9BE1040 00001004
	v_accvgpr_read_b32 v8, a36                                 // 000000006420: D3D84008 18000124
	v_accvgpr_read_b32 v9, a37                                 // 000000006428: D3D84009 18000125
	v_accvgpr_read_b32 v10, a38                                // 000000006430: D3D8400A 18000126
	v_accvgpr_read_b32 v11, a39                                // 000000006438: D3D8400B 18000127
	v_accvgpr_read_b32 v12, a44                                // 000000006440: D3D8400C 1800012C
	v_accvgpr_read_b32 v13, a45                                // 000000006448: D3D8400D 1800012D
	v_accvgpr_read_b32 v14, a46                                // 000000006450: D3D8400E 1800012E
	v_accvgpr_read_b32 v15, a47                                // 000000006458: D3D8400F 1800012F
	v_cvt_pk_bf16_f32 v16, v8, v9                              // 000000006460: D2680010 00021308
	v_cvt_pk_bf16_f32 v17, v10, v11                            // 000000006468: D2680011 0002170A
	v_cvt_pk_bf16_f32 v18, v12, v13                            // 000000006470: D2680012 00021B0C
	v_cvt_pk_bf16_f32 v19, v14, v15                            // 000000006478: D2680013 00021F0E
	s_nop 1                                                    // 000000006480: BF800001
	v_permlane16_swap_b32_e32 v16, v18                         // 000000006484: 7E20B312
	s_nop 1                                                    // 000000006488: BF800001
	v_permlane16_swap_b32_e32 v17, v19                         // 00000000648C: 7E22B313
	s_nop 1                                                    // 000000006490: BF800001
	ds_write_b128 v4, v[16:19] offset:6144                     // 000000006494: D9BE1800 00001004
	v_accvgpr_read_b32 v8, a52                                 // 00000000649C: D3D84008 18000134
	v_accvgpr_read_b32 v9, a53                                 // 0000000064A4: D3D84009 18000135
	v_accvgpr_read_b32 v10, a54                                // 0000000064AC: D3D8400A 18000136
	v_accvgpr_read_b32 v11, a55                                // 0000000064B4: D3D8400B 18000137
	v_accvgpr_read_b32 v12, a60                                // 0000000064BC: D3D8400C 1800013C
	v_accvgpr_read_b32 v13, a61                                // 0000000064C4: D3D8400D 1800013D
	v_accvgpr_read_b32 v14, a62                                // 0000000064CC: D3D8400E 1800013E
	v_accvgpr_read_b32 v15, a63                                // 0000000064D4: D3D8400F 1800013F
	v_cvt_pk_bf16_f32 v16, v8, v9                              // 0000000064DC: D2680010 00021308
	v_cvt_pk_bf16_f32 v17, v10, v11                            // 0000000064E4: D2680011 0002170A
	v_cvt_pk_bf16_f32 v18, v12, v13                            // 0000000064EC: D2680012 00021B0C
	v_cvt_pk_bf16_f32 v19, v14, v15                            // 0000000064F4: D2680013 00021F0E
	s_nop 1                                                    // 0000000064FC: BF800001
	v_permlane16_swap_b32_e32 v16, v18                         // 000000006500: 7E20B312
	s_nop 1                                                    // 000000006504: BF800001
	v_permlane16_swap_b32_e32 v17, v19                         // 000000006508: 7E22B313
	s_nop 1                                                    // 00000000650C: BF800001
	ds_write_b128 v4, v[16:19] offset:6208                     // 000000006510: D9BE1840 00001004
	v_accvgpr_read_b32 v8, a64                                 // 000000006518: D3D84008 18000140
	v_accvgpr_read_b32 v9, a65                                 // 000000006520: D3D84009 18000141
	v_accvgpr_read_b32 v10, a66                                // 000000006528: D3D8400A 18000142
	v_accvgpr_read_b32 v11, a67                                // 000000006530: D3D8400B 18000143
	v_accvgpr_read_b32 v12, a72                                // 000000006538: D3D8400C 18000148
	v_accvgpr_read_b32 v13, a73                                // 000000006540: D3D8400D 18000149
	v_accvgpr_read_b32 v14, a74                                // 000000006548: D3D8400E 1800014A
	v_accvgpr_read_b32 v15, a75                                // 000000006550: D3D8400F 1800014B
	v_cvt_pk_bf16_f32 v16, v8, v9                              // 000000006558: D2680010 00021308
	v_cvt_pk_bf16_f32 v17, v10, v11                            // 000000006560: D2680011 0002170A
	v_cvt_pk_bf16_f32 v18, v12, v13                            // 000000006568: D2680012 00021B0C
	v_cvt_pk_bf16_f32 v19, v14, v15                            // 000000006570: D2680013 00021F0E
	s_nop 1                                                    // 000000006578: BF800001
	v_permlane16_swap_b32_e32 v16, v18                         // 00000000657C: 7E20B312
	s_nop 1                                                    // 000000006580: BF800001
	v_permlane16_swap_b32_e32 v17, v19                         // 000000006584: 7E22B313
	s_nop 1                                                    // 000000006588: BF800001
	ds_write_b128 v4, v[16:19] offset:8192                     // 00000000658C: D9BE2000 00001004
	v_accvgpr_read_b32 v8, a80                                 // 000000006594: D3D84008 18000150
	v_accvgpr_read_b32 v9, a81                                 // 00000000659C: D3D84009 18000151
	v_accvgpr_read_b32 v10, a82                                // 0000000065A4: D3D8400A 18000152
	v_accvgpr_read_b32 v11, a83                                // 0000000065AC: D3D8400B 18000153
	v_accvgpr_read_b32 v12, a88                                // 0000000065B4: D3D8400C 18000158
	v_accvgpr_read_b32 v13, a89                                // 0000000065BC: D3D8400D 18000159
	v_accvgpr_read_b32 v14, a90                                // 0000000065C4: D3D8400E 1800015A
	v_accvgpr_read_b32 v15, a91                                // 0000000065CC: D3D8400F 1800015B
	v_cvt_pk_bf16_f32 v16, v8, v9                              // 0000000065D4: D2680010 00021308
	v_cvt_pk_bf16_f32 v17, v10, v11                            // 0000000065DC: D2680011 0002170A
	v_cvt_pk_bf16_f32 v18, v12, v13                            // 0000000065E4: D2680012 00021B0C
	v_cvt_pk_bf16_f32 v19, v14, v15                            // 0000000065EC: D2680013 00021F0E
	s_nop 1                                                    // 0000000065F4: BF800001
	v_permlane16_swap_b32_e32 v16, v18                         // 0000000065F8: 7E20B312
	s_nop 1                                                    // 0000000065FC: BF800001
	v_permlane16_swap_b32_e32 v17, v19                         // 000000006600: 7E22B313
	s_nop 1                                                    // 000000006604: BF800001
	ds_write_b128 v4, v[16:19] offset:8256                     // 000000006608: D9BE2040 00001004
	v_accvgpr_read_b32 v8, a68                                 // 000000006610: D3D84008 18000144
	v_accvgpr_read_b32 v9, a69                                 // 000000006618: D3D84009 18000145
	v_accvgpr_read_b32 v10, a70                                // 000000006620: D3D8400A 18000146
	v_accvgpr_read_b32 v11, a71                                // 000000006628: D3D8400B 18000147
	v_accvgpr_read_b32 v12, a76                                // 000000006630: D3D8400C 1800014C
	v_accvgpr_read_b32 v13, a77                                // 000000006638: D3D8400D 1800014D
	v_accvgpr_read_b32 v14, a78                                // 000000006640: D3D8400E 1800014E
	v_accvgpr_read_b32 v15, a79                                // 000000006648: D3D8400F 1800014F
	v_cvt_pk_bf16_f32 v16, v8, v9                              // 000000006650: D2680010 00021308
	v_cvt_pk_bf16_f32 v17, v10, v11                            // 000000006658: D2680011 0002170A
	v_cvt_pk_bf16_f32 v18, v12, v13                            // 000000006660: D2680012 00021B0C
	v_cvt_pk_bf16_f32 v19, v14, v15                            // 000000006668: D2680013 00021F0E
	s_nop 1                                                    // 000000006670: BF800001
	v_permlane16_swap_b32_e32 v16, v18                         // 000000006674: 7E20B312
	s_nop 1                                                    // 000000006678: BF800001
	v_permlane16_swap_b32_e32 v17, v19                         // 00000000667C: 7E22B313
	s_nop 1                                                    // 000000006680: BF800001
	ds_write_b128 v4, v[16:19] offset:10240                    // 000000006684: D9BE2800 00001004
	v_accvgpr_read_b32 v8, a84                                 // 00000000668C: D3D84008 18000154
	v_accvgpr_read_b32 v9, a85                                 // 000000006694: D3D84009 18000155
	v_accvgpr_read_b32 v10, a86                                // 00000000669C: D3D8400A 18000156
	v_accvgpr_read_b32 v11, a87                                // 0000000066A4: D3D8400B 18000157
	v_accvgpr_read_b32 v12, a92                                // 0000000066AC: D3D8400C 1800015C
	v_accvgpr_read_b32 v13, a93                                // 0000000066B4: D3D8400D 1800015D
	v_accvgpr_read_b32 v14, a94                                // 0000000066BC: D3D8400E 1800015E
	v_accvgpr_read_b32 v15, a95                                // 0000000066C4: D3D8400F 1800015F
	v_cvt_pk_bf16_f32 v16, v8, v9                              // 0000000066CC: D2680010 00021308
	v_cvt_pk_bf16_f32 v17, v10, v11                            // 0000000066D4: D2680011 0002170A
	v_cvt_pk_bf16_f32 v18, v12, v13                            // 0000000066DC: D2680012 00021B0C
	v_cvt_pk_bf16_f32 v19, v14, v15                            // 0000000066E4: D2680013 00021F0E
	s_nop 1                                                    // 0000000066EC: BF800001
	v_permlane16_swap_b32_e32 v16, v18                         // 0000000066F0: 7E20B312
	s_nop 1                                                    // 0000000066F4: BF800001
	v_permlane16_swap_b32_e32 v17, v19                         // 0000000066F8: 7E22B313
	s_nop 1                                                    // 0000000066FC: BF800001
	ds_write_b128 v4, v[16:19] offset:10304                    // 000000006700: D9BE2840 00001004
	v_accvgpr_read_b32 v8, a96                                 // 000000006708: D3D84008 18000160
	v_accvgpr_read_b32 v9, a97                                 // 000000006710: D3D84009 18000161
	v_accvgpr_read_b32 v10, a98                                // 000000006718: D3D8400A 18000162
	v_accvgpr_read_b32 v11, a99                                // 000000006720: D3D8400B 18000163
	v_accvgpr_read_b32 v12, a104                               // 000000006728: D3D8400C 18000168
	v_accvgpr_read_b32 v13, a105                               // 000000006730: D3D8400D 18000169
	v_accvgpr_read_b32 v14, a106                               // 000000006738: D3D8400E 1800016A
	v_accvgpr_read_b32 v15, a107                               // 000000006740: D3D8400F 1800016B
	v_cvt_pk_bf16_f32 v16, v8, v9                              // 000000006748: D2680010 00021308
	v_cvt_pk_bf16_f32 v17, v10, v11                            // 000000006750: D2680011 0002170A
	v_cvt_pk_bf16_f32 v18, v12, v13                            // 000000006758: D2680012 00021B0C
	v_cvt_pk_bf16_f32 v19, v14, v15                            // 000000006760: D2680013 00021F0E
	s_nop 1                                                    // 000000006768: BF800001
	v_permlane16_swap_b32_e32 v16, v18                         // 00000000676C: 7E20B312
	s_nop 1                                                    // 000000006770: BF800001
	v_permlane16_swap_b32_e32 v17, v19                         // 000000006774: 7E22B313
	s_nop 1                                                    // 000000006778: BF800001
	ds_write_b128 v4, v[16:19] offset:12288                    // 00000000677C: D9BE3000 00001004
	v_accvgpr_read_b32 v8, a112                                // 000000006784: D3D84008 18000170
	v_accvgpr_read_b32 v9, a113                                // 00000000678C: D3D84009 18000171
	v_accvgpr_read_b32 v10, a114                               // 000000006794: D3D8400A 18000172
	v_accvgpr_read_b32 v11, a115                               // 00000000679C: D3D8400B 18000173
	v_accvgpr_read_b32 v12, a120                               // 0000000067A4: D3D8400C 18000178
	v_accvgpr_read_b32 v13, a121                               // 0000000067AC: D3D8400D 18000179
	v_accvgpr_read_b32 v14, a122                               // 0000000067B4: D3D8400E 1800017A
	v_accvgpr_read_b32 v15, a123                               // 0000000067BC: D3D8400F 1800017B
	v_cvt_pk_bf16_f32 v16, v8, v9                              // 0000000067C4: D2680010 00021308
	v_cvt_pk_bf16_f32 v17, v10, v11                            // 0000000067CC: D2680011 0002170A
	v_cvt_pk_bf16_f32 v18, v12, v13                            // 0000000067D4: D2680012 00021B0C
	v_cvt_pk_bf16_f32 v19, v14, v15                            // 0000000067DC: D2680013 00021F0E
	s_nop 1                                                    // 0000000067E4: BF800001
	v_permlane16_swap_b32_e32 v16, v18                         // 0000000067E8: 7E20B312
	s_nop 1                                                    // 0000000067EC: BF800001
	v_permlane16_swap_b32_e32 v17, v19                         // 0000000067F0: 7E22B313
	s_nop 1                                                    // 0000000067F4: BF800001
	ds_write_b128 v4, v[16:19] offset:12352                    // 0000000067F8: D9BE3040 00001004
	v_accvgpr_read_b32 v8, a100                                // 000000006800: D3D84008 18000164
	v_accvgpr_read_b32 v9, a101                                // 000000006808: D3D84009 18000165
	v_accvgpr_read_b32 v10, a102                               // 000000006810: D3D8400A 18000166
	v_accvgpr_read_b32 v11, a103                               // 000000006818: D3D8400B 18000167
	v_accvgpr_read_b32 v12, a108                               // 000000006820: D3D8400C 1800016C
	v_accvgpr_read_b32 v13, a109                               // 000000006828: D3D8400D 1800016D
	v_accvgpr_read_b32 v14, a110                               // 000000006830: D3D8400E 1800016E
	v_accvgpr_read_b32 v15, a111                               // 000000006838: D3D8400F 1800016F
	v_cvt_pk_bf16_f32 v16, v8, v9                              // 000000006840: D2680010 00021308
	v_cvt_pk_bf16_f32 v17, v10, v11                            // 000000006848: D2680011 0002170A
	v_cvt_pk_bf16_f32 v18, v12, v13                            // 000000006850: D2680012 00021B0C
	v_cvt_pk_bf16_f32 v19, v14, v15                            // 000000006858: D2680013 00021F0E
	s_nop 1                                                    // 000000006860: BF800001
	v_permlane16_swap_b32_e32 v16, v18                         // 000000006864: 7E20B312
	s_nop 1                                                    // 000000006868: BF800001
	v_permlane16_swap_b32_e32 v17, v19                         // 00000000686C: 7E22B313
	s_nop 1                                                    // 000000006870: BF800001
	ds_write_b128 v4, v[16:19] offset:14336                    // 000000006874: D9BE3800 00001004
	v_accvgpr_read_b32 v8, a116                                // 00000000687C: D3D84008 18000174
	v_accvgpr_read_b32 v9, a117                                // 000000006884: D3D84009 18000175
	v_accvgpr_read_b32 v10, a118                               // 00000000688C: D3D8400A 18000176
	v_accvgpr_read_b32 v11, a119                               // 000000006894: D3D8400B 18000177
	v_accvgpr_read_b32 v12, a124                               // 00000000689C: D3D8400C 1800017C
	v_accvgpr_read_b32 v13, a125                               // 0000000068A4: D3D8400D 1800017D
	v_accvgpr_read_b32 v14, a126                               // 0000000068AC: D3D8400E 1800017E
	v_accvgpr_read_b32 v15, a127                               // 0000000068B4: D3D8400F 1800017F
	v_cvt_pk_bf16_f32 v16, v8, v9                              // 0000000068BC: D2680010 00021308
	v_cvt_pk_bf16_f32 v17, v10, v11                            // 0000000068C4: D2680011 0002170A
	v_cvt_pk_bf16_f32 v18, v12, v13                            // 0000000068CC: D2680012 00021B0C
	v_cvt_pk_bf16_f32 v19, v14, v15                            // 0000000068D4: D2680013 00021F0E
	s_nop 1                                                    // 0000000068DC: BF800001
	v_permlane16_swap_b32_e32 v16, v18                         // 0000000068E0: 7E20B312
	s_nop 1                                                    // 0000000068E4: BF800001
	v_permlane16_swap_b32_e32 v17, v19                         // 0000000068E8: 7E22B313
	s_nop 1                                                    // 0000000068EC: BF800001
	ds_write_b128 v4, v[16:19] offset:14400                    // 0000000068F0: D9BE3840 00001004
	v_accvgpr_read_b32 v8, a128                                // 0000000068F8: D3D84008 18000180
	v_accvgpr_read_b32 v9, a129                                // 000000006900: D3D84009 18000181
	v_accvgpr_read_b32 v10, a130                               // 000000006908: D3D8400A 18000182
	v_accvgpr_read_b32 v11, a131                               // 000000006910: D3D8400B 18000183
	v_accvgpr_read_b32 v12, a136                               // 000000006918: D3D8400C 18000188
	v_accvgpr_read_b32 v13, a137                               // 000000006920: D3D8400D 18000189
	v_accvgpr_read_b32 v14, a138                               // 000000006928: D3D8400E 1800018A
	v_accvgpr_read_b32 v15, a139                               // 000000006930: D3D8400F 1800018B
	v_cvt_pk_bf16_f32 v16, v8, v9                              // 000000006938: D2680010 00021308
	v_cvt_pk_bf16_f32 v17, v10, v11                            // 000000006940: D2680011 0002170A
	v_cvt_pk_bf16_f32 v18, v12, v13                            // 000000006948: D2680012 00021B0C
	v_cvt_pk_bf16_f32 v19, v14, v15                            // 000000006950: D2680013 00021F0E
	s_nop 1                                                    // 000000006958: BF800001
	v_permlane16_swap_b32_e32 v16, v18                         // 00000000695C: 7E20B312
	s_nop 1                                                    // 000000006960: BF800001
	v_permlane16_swap_b32_e32 v17, v19                         // 000000006964: 7E22B313
	s_nop 1                                                    // 000000006968: BF800001
	ds_write_b128 v4, v[16:19] offset:16384                    // 00000000696C: D9BE4000 00001004
	v_accvgpr_read_b32 v8, a144                                // 000000006974: D3D84008 18000190
	v_accvgpr_read_b32 v9, a145                                // 00000000697C: D3D84009 18000191
	v_accvgpr_read_b32 v10, a146                               // 000000006984: D3D8400A 18000192
	v_accvgpr_read_b32 v11, a147                               // 00000000698C: D3D8400B 18000193
	v_accvgpr_read_b32 v12, a152                               // 000000006994: D3D8400C 18000198
	v_accvgpr_read_b32 v13, a153                               // 00000000699C: D3D8400D 18000199
	v_accvgpr_read_b32 v14, a154                               // 0000000069A4: D3D8400E 1800019A
	v_accvgpr_read_b32 v15, a155                               // 0000000069AC: D3D8400F 1800019B
	v_cvt_pk_bf16_f32 v16, v8, v9                              // 0000000069B4: D2680010 00021308
	v_cvt_pk_bf16_f32 v17, v10, v11                            // 0000000069BC: D2680011 0002170A
	v_cvt_pk_bf16_f32 v18, v12, v13                            // 0000000069C4: D2680012 00021B0C
	v_cvt_pk_bf16_f32 v19, v14, v15                            // 0000000069CC: D2680013 00021F0E
	s_nop 1                                                    // 0000000069D4: BF800001
	v_permlane16_swap_b32_e32 v16, v18                         // 0000000069D8: 7E20B312
	s_nop 1                                                    // 0000000069DC: BF800001
	v_permlane16_swap_b32_e32 v17, v19                         // 0000000069E0: 7E22B313
	s_nop 1                                                    // 0000000069E4: BF800001
	ds_write_b128 v4, v[16:19] offset:16448                    // 0000000069E8: D9BE4040 00001004
	v_accvgpr_read_b32 v8, a132                                // 0000000069F0: D3D84008 18000184
	v_accvgpr_read_b32 v9, a133                                // 0000000069F8: D3D84009 18000185
	v_accvgpr_read_b32 v10, a134                               // 000000006A00: D3D8400A 18000186
	v_accvgpr_read_b32 v11, a135                               // 000000006A08: D3D8400B 18000187
	v_accvgpr_read_b32 v12, a140                               // 000000006A10: D3D8400C 1800018C
	v_accvgpr_read_b32 v13, a141                               // 000000006A18: D3D8400D 1800018D
	v_accvgpr_read_b32 v14, a142                               // 000000006A20: D3D8400E 1800018E
	v_accvgpr_read_b32 v15, a143                               // 000000006A28: D3D8400F 1800018F
	v_cvt_pk_bf16_f32 v16, v8, v9                              // 000000006A30: D2680010 00021308
	v_cvt_pk_bf16_f32 v17, v10, v11                            // 000000006A38: D2680011 0002170A
	v_cvt_pk_bf16_f32 v18, v12, v13                            // 000000006A40: D2680012 00021B0C
	v_cvt_pk_bf16_f32 v19, v14, v15                            // 000000006A48: D2680013 00021F0E
	s_nop 1                                                    // 000000006A50: BF800001
	v_permlane16_swap_b32_e32 v16, v18                         // 000000006A54: 7E20B312
	s_nop 1                                                    // 000000006A58: BF800001
	v_permlane16_swap_b32_e32 v17, v19                         // 000000006A5C: 7E22B313
	s_nop 1                                                    // 000000006A60: BF800001
	ds_write_b128 v4, v[16:19] offset:18432                    // 000000006A64: D9BE4800 00001004
	v_accvgpr_read_b32 v8, a148                                // 000000006A6C: D3D84008 18000194
	v_accvgpr_read_b32 v9, a149                                // 000000006A74: D3D84009 18000195
	v_accvgpr_read_b32 v10, a150                               // 000000006A7C: D3D8400A 18000196
	v_accvgpr_read_b32 v11, a151                               // 000000006A84: D3D8400B 18000197
	v_accvgpr_read_b32 v12, a156                               // 000000006A8C: D3D8400C 1800019C
	v_accvgpr_read_b32 v13, a157                               // 000000006A94: D3D8400D 1800019D
	v_accvgpr_read_b32 v14, a158                               // 000000006A9C: D3D8400E 1800019E
	v_accvgpr_read_b32 v15, a159                               // 000000006AA4: D3D8400F 1800019F
	v_cvt_pk_bf16_f32 v16, v8, v9                              // 000000006AAC: D2680010 00021308
	v_cvt_pk_bf16_f32 v17, v10, v11                            // 000000006AB4: D2680011 0002170A
	v_cvt_pk_bf16_f32 v18, v12, v13                            // 000000006ABC: D2680012 00021B0C
	v_cvt_pk_bf16_f32 v19, v14, v15                            // 000000006AC4: D2680013 00021F0E
	s_nop 1                                                    // 000000006ACC: BF800001
	v_permlane16_swap_b32_e32 v16, v18                         // 000000006AD0: 7E20B312
	s_nop 1                                                    // 000000006AD4: BF800001
	v_permlane16_swap_b32_e32 v17, v19                         // 000000006AD8: 7E22B313
	s_nop 1                                                    // 000000006ADC: BF800001
	ds_write_b128 v4, v[16:19] offset:18496                    // 000000006AE0: D9BE4840 00001004
	v_accvgpr_read_b32 v8, a160                                // 000000006AE8: D3D84008 180001A0
	v_accvgpr_read_b32 v9, a161                                // 000000006AF0: D3D84009 180001A1
	v_accvgpr_read_b32 v10, a162                               // 000000006AF8: D3D8400A 180001A2
	v_accvgpr_read_b32 v11, a163                               // 000000006B00: D3D8400B 180001A3
	v_accvgpr_read_b32 v12, a168                               // 000000006B08: D3D8400C 180001A8
	v_accvgpr_read_b32 v13, a169                               // 000000006B10: D3D8400D 180001A9
	v_accvgpr_read_b32 v14, a170                               // 000000006B18: D3D8400E 180001AA
	v_accvgpr_read_b32 v15, a171                               // 000000006B20: D3D8400F 180001AB
	v_cvt_pk_bf16_f32 v16, v8, v9                              // 000000006B28: D2680010 00021308
	v_cvt_pk_bf16_f32 v17, v10, v11                            // 000000006B30: D2680011 0002170A
	v_cvt_pk_bf16_f32 v18, v12, v13                            // 000000006B38: D2680012 00021B0C
	v_cvt_pk_bf16_f32 v19, v14, v15                            // 000000006B40: D2680013 00021F0E
	s_nop 1                                                    // 000000006B48: BF800001
	v_permlane16_swap_b32_e32 v16, v18                         // 000000006B4C: 7E20B312
	s_nop 1                                                    // 000000006B50: BF800001
	v_permlane16_swap_b32_e32 v17, v19                         // 000000006B54: 7E22B313
	s_nop 1                                                    // 000000006B58: BF800001
	ds_write_b128 v4, v[16:19] offset:20480                    // 000000006B5C: D9BE5000 00001004
	v_accvgpr_read_b32 v8, a176                                // 000000006B64: D3D84008 180001B0
	v_accvgpr_read_b32 v9, a177                                // 000000006B6C: D3D84009 180001B1
	v_accvgpr_read_b32 v10, a178                               // 000000006B74: D3D8400A 180001B2
	v_accvgpr_read_b32 v11, a179                               // 000000006B7C: D3D8400B 180001B3
	v_accvgpr_read_b32 v12, a184                               // 000000006B84: D3D8400C 180001B8
	v_accvgpr_read_b32 v13, a185                               // 000000006B8C: D3D8400D 180001B9
	v_accvgpr_read_b32 v14, a186                               // 000000006B94: D3D8400E 180001BA
	v_accvgpr_read_b32 v15, a187                               // 000000006B9C: D3D8400F 180001BB
	v_cvt_pk_bf16_f32 v16, v8, v9                              // 000000006BA4: D2680010 00021308
	v_cvt_pk_bf16_f32 v17, v10, v11                            // 000000006BAC: D2680011 0002170A
	v_cvt_pk_bf16_f32 v18, v12, v13                            // 000000006BB4: D2680012 00021B0C
	v_cvt_pk_bf16_f32 v19, v14, v15                            // 000000006BBC: D2680013 00021F0E
	s_nop 1                                                    // 000000006BC4: BF800001
	v_permlane16_swap_b32_e32 v16, v18                         // 000000006BC8: 7E20B312
	s_nop 1                                                    // 000000006BCC: BF800001
	v_permlane16_swap_b32_e32 v17, v19                         // 000000006BD0: 7E22B313
	s_nop 1                                                    // 000000006BD4: BF800001
	ds_write_b128 v4, v[16:19] offset:20544                    // 000000006BD8: D9BE5040 00001004
	v_accvgpr_read_b32 v8, a164                                // 000000006BE0: D3D84008 180001A4
	v_accvgpr_read_b32 v9, a165                                // 000000006BE8: D3D84009 180001A5
	v_accvgpr_read_b32 v10, a166                               // 000000006BF0: D3D8400A 180001A6
	v_accvgpr_read_b32 v11, a167                               // 000000006BF8: D3D8400B 180001A7
	v_accvgpr_read_b32 v12, a172                               // 000000006C00: D3D8400C 180001AC
	v_accvgpr_read_b32 v13, a173                               // 000000006C08: D3D8400D 180001AD
	v_accvgpr_read_b32 v14, a174                               // 000000006C10: D3D8400E 180001AE
	v_accvgpr_read_b32 v15, a175                               // 000000006C18: D3D8400F 180001AF
	v_cvt_pk_bf16_f32 v16, v8, v9                              // 000000006C20: D2680010 00021308
	v_cvt_pk_bf16_f32 v17, v10, v11                            // 000000006C28: D2680011 0002170A
	v_cvt_pk_bf16_f32 v18, v12, v13                            // 000000006C30: D2680012 00021B0C
	v_cvt_pk_bf16_f32 v19, v14, v15                            // 000000006C38: D2680013 00021F0E
	s_nop 1                                                    // 000000006C40: BF800001
	v_permlane16_swap_b32_e32 v16, v18                         // 000000006C44: 7E20B312
	s_nop 1                                                    // 000000006C48: BF800001
	v_permlane16_swap_b32_e32 v17, v19                         // 000000006C4C: 7E22B313
	s_nop 1                                                    // 000000006C50: BF800001
	ds_write_b128 v4, v[16:19] offset:22528                    // 000000006C54: D9BE5800 00001004
	v_accvgpr_read_b32 v8, a180                                // 000000006C5C: D3D84008 180001B4
	v_accvgpr_read_b32 v9, a181                                // 000000006C64: D3D84009 180001B5
	v_accvgpr_read_b32 v10, a182                               // 000000006C6C: D3D8400A 180001B6
	v_accvgpr_read_b32 v11, a183                               // 000000006C74: D3D8400B 180001B7
	v_accvgpr_read_b32 v12, a188                               // 000000006C7C: D3D8400C 180001BC
	v_accvgpr_read_b32 v13, a189                               // 000000006C84: D3D8400D 180001BD
	v_accvgpr_read_b32 v14, a190                               // 000000006C8C: D3D8400E 180001BE
	v_accvgpr_read_b32 v15, a191                               // 000000006C94: D3D8400F 180001BF
	v_cvt_pk_bf16_f32 v16, v8, v9                              // 000000006C9C: D2680010 00021308
	v_cvt_pk_bf16_f32 v17, v10, v11                            // 000000006CA4: D2680011 0002170A
	v_cvt_pk_bf16_f32 v18, v12, v13                            // 000000006CAC: D2680012 00021B0C
	v_cvt_pk_bf16_f32 v19, v14, v15                            // 000000006CB4: D2680013 00021F0E
	s_nop 1                                                    // 000000006CBC: BF800001
	v_permlane16_swap_b32_e32 v16, v18                         // 000000006CC0: 7E20B312
	s_nop 1                                                    // 000000006CC4: BF800001
	v_permlane16_swap_b32_e32 v17, v19                         // 000000006CC8: 7E22B313
	s_nop 1                                                    // 000000006CCC: BF800001
	ds_write_b128 v4, v[16:19] offset:22592                    // 000000006CD0: D9BE5840 00001004
	v_accvgpr_read_b32 v8, a192                                // 000000006CD8: D3D84008 180001C0
	v_accvgpr_read_b32 v9, a193                                // 000000006CE0: D3D84009 180001C1
	v_accvgpr_read_b32 v10, a194                               // 000000006CE8: D3D8400A 180001C2
	v_accvgpr_read_b32 v11, a195                               // 000000006CF0: D3D8400B 180001C3
	v_accvgpr_read_b32 v12, a200                               // 000000006CF8: D3D8400C 180001C8
	v_accvgpr_read_b32 v13, a201                               // 000000006D00: D3D8400D 180001C9
	v_accvgpr_read_b32 v14, a202                               // 000000006D08: D3D8400E 180001CA
	v_accvgpr_read_b32 v15, a203                               // 000000006D10: D3D8400F 180001CB
	v_cvt_pk_bf16_f32 v16, v8, v9                              // 000000006D18: D2680010 00021308
	v_cvt_pk_bf16_f32 v17, v10, v11                            // 000000006D20: D2680011 0002170A
	v_cvt_pk_bf16_f32 v18, v12, v13                            // 000000006D28: D2680012 00021B0C
	v_cvt_pk_bf16_f32 v19, v14, v15                            // 000000006D30: D2680013 00021F0E
	s_nop 1                                                    // 000000006D38: BF800001
	v_permlane16_swap_b32_e32 v16, v18                         // 000000006D3C: 7E20B312
	s_nop 1                                                    // 000000006D40: BF800001
	v_permlane16_swap_b32_e32 v17, v19                         // 000000006D44: 7E22B313
	s_nop 1                                                    // 000000006D48: BF800001
	ds_write_b128 v4, v[16:19] offset:24576                    // 000000006D4C: D9BE6000 00001004
	v_accvgpr_read_b32 v8, a208                                // 000000006D54: D3D84008 180001D0
	v_accvgpr_read_b32 v9, a209                                // 000000006D5C: D3D84009 180001D1
	v_accvgpr_read_b32 v10, a210                               // 000000006D64: D3D8400A 180001D2
	v_accvgpr_read_b32 v11, a211                               // 000000006D6C: D3D8400B 180001D3
	v_accvgpr_read_b32 v12, a216                               // 000000006D74: D3D8400C 180001D8
	v_accvgpr_read_b32 v13, a217                               // 000000006D7C: D3D8400D 180001D9
	v_accvgpr_read_b32 v14, a218                               // 000000006D84: D3D8400E 180001DA
	v_accvgpr_read_b32 v15, a219                               // 000000006D8C: D3D8400F 180001DB
	v_cvt_pk_bf16_f32 v16, v8, v9                              // 000000006D94: D2680010 00021308
	v_cvt_pk_bf16_f32 v17, v10, v11                            // 000000006D9C: D2680011 0002170A
	v_cvt_pk_bf16_f32 v18, v12, v13                            // 000000006DA4: D2680012 00021B0C
	v_cvt_pk_bf16_f32 v19, v14, v15                            // 000000006DAC: D2680013 00021F0E
	s_nop 1                                                    // 000000006DB4: BF800001
	v_permlane16_swap_b32_e32 v16, v18                         // 000000006DB8: 7E20B312
	s_nop 1                                                    // 000000006DBC: BF800001
	v_permlane16_swap_b32_e32 v17, v19                         // 000000006DC0: 7E22B313
	s_nop 1                                                    // 000000006DC4: BF800001
	ds_write_b128 v4, v[16:19] offset:24640                    // 000000006DC8: D9BE6040 00001004
	v_accvgpr_read_b32 v8, a196                                // 000000006DD0: D3D84008 180001C4
	v_accvgpr_read_b32 v9, a197                                // 000000006DD8: D3D84009 180001C5
	v_accvgpr_read_b32 v10, a198                               // 000000006DE0: D3D8400A 180001C6
	v_accvgpr_read_b32 v11, a199                               // 000000006DE8: D3D8400B 180001C7
	v_accvgpr_read_b32 v12, a204                               // 000000006DF0: D3D8400C 180001CC
	v_accvgpr_read_b32 v13, a205                               // 000000006DF8: D3D8400D 180001CD
	v_accvgpr_read_b32 v14, a206                               // 000000006E00: D3D8400E 180001CE
	v_accvgpr_read_b32 v15, a207                               // 000000006E08: D3D8400F 180001CF
	v_cvt_pk_bf16_f32 v16, v8, v9                              // 000000006E10: D2680010 00021308
	v_cvt_pk_bf16_f32 v17, v10, v11                            // 000000006E18: D2680011 0002170A
	v_cvt_pk_bf16_f32 v18, v12, v13                            // 000000006E20: D2680012 00021B0C
	v_cvt_pk_bf16_f32 v19, v14, v15                            // 000000006E28: D2680013 00021F0E
	s_nop 1                                                    // 000000006E30: BF800001
	v_permlane16_swap_b32_e32 v16, v18                         // 000000006E34: 7E20B312
	s_nop 1                                                    // 000000006E38: BF800001
	v_permlane16_swap_b32_e32 v17, v19                         // 000000006E3C: 7E22B313
	s_nop 1                                                    // 000000006E40: BF800001
	ds_write_b128 v4, v[16:19] offset:26624                    // 000000006E44: D9BE6800 00001004
	v_accvgpr_read_b32 v8, a212                                // 000000006E4C: D3D84008 180001D4
	v_accvgpr_read_b32 v9, a213                                // 000000006E54: D3D84009 180001D5
	v_accvgpr_read_b32 v10, a214                               // 000000006E5C: D3D8400A 180001D6
	v_accvgpr_read_b32 v11, a215                               // 000000006E64: D3D8400B 180001D7
	v_accvgpr_read_b32 v12, a220                               // 000000006E6C: D3D8400C 180001DC
	v_accvgpr_read_b32 v13, a221                               // 000000006E74: D3D8400D 180001DD
	v_accvgpr_read_b32 v14, a222                               // 000000006E7C: D3D8400E 180001DE
	v_accvgpr_read_b32 v15, a223                               // 000000006E84: D3D8400F 180001DF
	v_cvt_pk_bf16_f32 v16, v8, v9                              // 000000006E8C: D2680010 00021308
	v_cvt_pk_bf16_f32 v17, v10, v11                            // 000000006E94: D2680011 0002170A
	v_cvt_pk_bf16_f32 v18, v12, v13                            // 000000006E9C: D2680012 00021B0C
	v_cvt_pk_bf16_f32 v19, v14, v15                            // 000000006EA4: D2680013 00021F0E
	s_nop 1                                                    // 000000006EAC: BF800001
	v_permlane16_swap_b32_e32 v16, v18                         // 000000006EB0: 7E20B312
	s_nop 1                                                    // 000000006EB4: BF800001
	v_permlane16_swap_b32_e32 v17, v19                         // 000000006EB8: 7E22B313
	s_nop 1                                                    // 000000006EBC: BF800001
	ds_write_b128 v4, v[16:19] offset:26688                    // 000000006EC0: D9BE6840 00001004
	s_waitcnt lgkmcnt(0)                                       // 000000006EC8: BF8CC07F
	v_mul_i32_i24_e64 v4, v0, 16                               // 000000006ECC: D1060004 00012100
	v_add_i32 v4, v4, s62                                      // 000000006ED4: D29C0004 00007D04
	ds_read_b128 v[16:19], v4                                  // 000000006EDC: D9FE0000 10000004
	s_waitcnt lgkmcnt(0)                                       // 000000006EE4: BF8CC07F
	buffer_store_dwordx4 v[16:19], v213, s[4:7], 0 offen       // 000000006EE8: E07C1000 800110D5
	ds_read_b128 v[16:19], v4 offset:1024                      // 000000006EF0: D9FE0400 10000004
	s_waitcnt lgkmcnt(0)                                       // 000000006EF8: BF8CC07F
	buffer_store_dwordx4 v[16:19], v214, s[4:7], 0 offen       // 000000006EFC: E07C1000 800110D6
	ds_read_b128 v[16:19], v4 offset:2048                      // 000000006F04: D9FE0800 10000004
	s_waitcnt lgkmcnt(0)                                       // 000000006F0C: BF8CC07F
	buffer_store_dwordx4 v[16:19], v215, s[4:7], 0 offen       // 000000006F10: E07C1000 800110D7
	ds_read_b128 v[16:19], v4 offset:3072                      // 000000006F18: D9FE0C00 10000004
	s_waitcnt lgkmcnt(0)                                       // 000000006F20: BF8CC07F
	buffer_store_dwordx4 v[16:19], v216, s[4:7], 0 offen       // 000000006F24: E07C1000 800110D8
	ds_read_b128 v[16:19], v4 offset:4096                      // 000000006F2C: D9FE1000 10000004
	s_waitcnt lgkmcnt(0)                                       // 000000006F34: BF8CC07F
	buffer_store_dwordx4 v[16:19], v217, s[4:7], 0 offen       // 000000006F38: E07C1000 800110D9
	ds_read_b128 v[16:19], v4 offset:5120                      // 000000006F40: D9FE1400 10000004
	s_waitcnt lgkmcnt(0)                                       // 000000006F48: BF8CC07F
	buffer_store_dwordx4 v[16:19], v218, s[4:7], 0 offen       // 000000006F4C: E07C1000 800110DA
	ds_read_b128 v[16:19], v4 offset:6144                      // 000000006F54: D9FE1800 10000004
	s_waitcnt lgkmcnt(0)                                       // 000000006F5C: BF8CC07F
	buffer_store_dwordx4 v[16:19], v219, s[4:7], 0 offen       // 000000006F60: E07C1000 800110DB
	ds_read_b128 v[16:19], v4 offset:7168                      // 000000006F68: D9FE1C00 10000004
	s_waitcnt lgkmcnt(0)                                       // 000000006F70: BF8CC07F
	buffer_store_dwordx4 v[16:19], v220, s[4:7], 0 offen       // 000000006F74: E07C1000 800110DC
	ds_read_b128 v[16:19], v4 offset:8192                      // 000000006F7C: D9FE2000 10000004
	s_waitcnt lgkmcnt(0)                                       // 000000006F84: BF8CC07F
	buffer_store_dwordx4 v[16:19], v221, s[4:7], 0 offen       // 000000006F88: E07C1000 800110DD
	ds_read_b128 v[16:19], v4 offset:9216                      // 000000006F90: D9FE2400 10000004
	s_waitcnt lgkmcnt(0)                                       // 000000006F98: BF8CC07F
	buffer_store_dwordx4 v[16:19], v222, s[4:7], 0 offen       // 000000006F9C: E07C1000 800110DE
	ds_read_b128 v[16:19], v4 offset:10240                     // 000000006FA4: D9FE2800 10000004
	s_waitcnt lgkmcnt(0)                                       // 000000006FAC: BF8CC07F
	buffer_store_dwordx4 v[16:19], v223, s[4:7], 0 offen       // 000000006FB0: E07C1000 800110DF
	ds_read_b128 v[16:19], v4 offset:11264                     // 000000006FB8: D9FE2C00 10000004
	s_waitcnt lgkmcnt(0)                                       // 000000006FC0: BF8CC07F
	buffer_store_dwordx4 v[16:19], v224, s[4:7], 0 offen       // 000000006FC4: E07C1000 800110E0
	ds_read_b128 v[16:19], v4 offset:12288                     // 000000006FCC: D9FE3000 10000004
	s_waitcnt lgkmcnt(0)                                       // 000000006FD4: BF8CC07F
	buffer_store_dwordx4 v[16:19], v225, s[4:7], 0 offen       // 000000006FD8: E07C1000 800110E1
	ds_read_b128 v[16:19], v4 offset:13312                     // 000000006FE0: D9FE3400 10000004
	s_waitcnt lgkmcnt(0)                                       // 000000006FE8: BF8CC07F
	buffer_store_dwordx4 v[16:19], v226, s[4:7], 0 offen       // 000000006FEC: E07C1000 800110E2
	ds_read_b128 v[16:19], v4 offset:14336                     // 000000006FF4: D9FE3800 10000004
	s_waitcnt lgkmcnt(0)                                       // 000000006FFC: BF8CC07F
	buffer_store_dwordx4 v[16:19], v227, s[4:7], 0 offen       // 000000007000: E07C1000 800110E3
	ds_read_b128 v[16:19], v4 offset:15360                     // 000000007008: D9FE3C00 10000004
	s_waitcnt lgkmcnt(0)                                       // 000000007010: BF8CC07F
	buffer_store_dwordx4 v[16:19], v228, s[4:7], 0 offen       // 000000007014: E07C1000 800110E4
	ds_read_b128 v[16:19], v4 offset:16384                     // 00000000701C: D9FE4000 10000004
	s_waitcnt lgkmcnt(0)                                       // 000000007024: BF8CC07F
	buffer_store_dwordx4 v[16:19], v229, s[4:7], 0 offen       // 000000007028: E07C1000 800110E5
	ds_read_b128 v[16:19], v4 offset:17408                     // 000000007030: D9FE4400 10000004
	s_waitcnt lgkmcnt(0)                                       // 000000007038: BF8CC07F
	buffer_store_dwordx4 v[16:19], v230, s[4:7], 0 offen       // 00000000703C: E07C1000 800110E6
	ds_read_b128 v[16:19], v4 offset:18432                     // 000000007044: D9FE4800 10000004
	s_waitcnt lgkmcnt(0)                                       // 00000000704C: BF8CC07F
	buffer_store_dwordx4 v[16:19], v231, s[4:7], 0 offen       // 000000007050: E07C1000 800110E7
	ds_read_b128 v[16:19], v4 offset:19456                     // 000000007058: D9FE4C00 10000004
	s_waitcnt lgkmcnt(0)                                       // 000000007060: BF8CC07F
	buffer_store_dwordx4 v[16:19], v232, s[4:7], 0 offen       // 000000007064: E07C1000 800110E8
	ds_read_b128 v[16:19], v4 offset:20480                     // 00000000706C: D9FE5000 10000004
	s_waitcnt lgkmcnt(0)                                       // 000000007074: BF8CC07F
	buffer_store_dwordx4 v[16:19], v233, s[4:7], 0 offen       // 000000007078: E07C1000 800110E9
	ds_read_b128 v[16:19], v4 offset:21504                     // 000000007080: D9FE5400 10000004
	s_waitcnt lgkmcnt(0)                                       // 000000007088: BF8CC07F
	buffer_store_dwordx4 v[16:19], v234, s[4:7], 0 offen       // 00000000708C: E07C1000 800110EA
	ds_read_b128 v[16:19], v4 offset:22528                     // 000000007094: D9FE5800 10000004
	s_waitcnt lgkmcnt(0)                                       // 00000000709C: BF8CC07F
	buffer_store_dwordx4 v[16:19], v235, s[4:7], 0 offen       // 0000000070A0: E07C1000 800110EB
	ds_read_b128 v[16:19], v4 offset:23552                     // 0000000070A8: D9FE5C00 10000004
	s_waitcnt lgkmcnt(0)                                       // 0000000070B0: BF8CC07F
	buffer_store_dwordx4 v[16:19], v236, s[4:7], 0 offen       // 0000000070B4: E07C1000 800110EC
	ds_read_b128 v[16:19], v4 offset:24576                     // 0000000070BC: D9FE6000 10000004
	s_waitcnt lgkmcnt(0)                                       // 0000000070C4: BF8CC07F
	buffer_store_dwordx4 v[16:19], v237, s[4:7], 0 offen       // 0000000070C8: E07C1000 800110ED
	ds_read_b128 v[16:19], v4 offset:25600                     // 0000000070D0: D9FE6400 10000004
	s_waitcnt lgkmcnt(0)                                       // 0000000070D8: BF8CC07F
	buffer_store_dwordx4 v[16:19], v238, s[4:7], 0 offen       // 0000000070DC: E07C1000 800110EE
	ds_read_b128 v[16:19], v4 offset:26624                     // 0000000070E4: D9FE6800 10000004
	s_waitcnt lgkmcnt(0)                                       // 0000000070EC: BF8CC07F
	buffer_store_dwordx4 v[16:19], v239, s[4:7], 0 offen       // 0000000070F0: E07C1000 800110EF
	ds_read_b128 v[16:19], v4 offset:27648                     // 0000000070F8: D9FE6C00 10000004
	s_waitcnt lgkmcnt(0)                                       // 000000007100: BF8CC07F
	buffer_store_dwordx4 v[16:19], v240, s[4:7], 0 offen       // 000000007104: E07C1000 800110F0
	s_waitcnt vmcnt(0) expcnt(0) lgkmcnt(0)                    // 00000000710C: BF8C0000
	s_endpgm                                                   // 000000007110: BF810000
